;; amdgpu-corpus repo=ROCm/rocFFT kind=compiled arch=gfx1201 opt=O3
	.text
	.amdgcn_target "amdgcn-amd-amdhsa--gfx1201"
	.amdhsa_code_object_version 6
	.protected	bluestein_single_fwd_len756_dim1_half_op_CI_CI ; -- Begin function bluestein_single_fwd_len756_dim1_half_op_CI_CI
	.globl	bluestein_single_fwd_len756_dim1_half_op_CI_CI
	.p2align	8
	.type	bluestein_single_fwd_len756_dim1_half_op_CI_CI,@function
bluestein_single_fwd_len756_dim1_half_op_CI_CI: ; @bluestein_single_fwd_len756_dim1_half_op_CI_CI
; %bb.0:
	s_load_b128 s[12:15], s[0:1], 0x28
	v_mul_u32_u24_e32 v1, 0x411, v0
	s_mov_b32 s2, exec_lo
	v_mov_b32_e32 v9, 0
	s_delay_alu instid0(VALU_DEP_2) | instskip(NEXT) | instid1(VALU_DEP_1)
	v_lshrrev_b32_e32 v1, 16, v1
	v_add_nc_u32_e32 v8, ttmp9, v1
	s_wait_kmcnt 0x0
	s_delay_alu instid0(VALU_DEP_1)
	v_cmpx_gt_u64_e64 s[12:13], v[8:9]
	s_cbranch_execz .LBB0_10
; %bb.1:
	s_clause 0x1
	s_load_b128 s[4:7], s[0:1], 0x18
	s_load_b128 s[8:11], s[0:1], 0x0
	v_mul_lo_u16 v1, v1, 63
	s_movk_i32 s2, 0xfb14
	s_mov_b32 s3, -1
	s_delay_alu instid0(VALU_DEP_1)
	v_sub_nc_u16 v2, v0, v1
	s_wait_kmcnt 0x0
	s_load_b128 s[16:19], s[4:5], 0x0
	s_wait_kmcnt 0x0
	v_mad_co_u64_u32 v[0:1], null, s18, v8, 0
	s_mul_u64 s[4:5], s[16:17], 0x5e8
	s_mul_u64 s[2:3], s[16:17], s[2:3]
	s_delay_alu instid0(VALU_DEP_1) | instskip(NEXT) | instid1(VALU_DEP_1)
	v_mad_co_u64_u32 v[5:6], null, s19, v8, v[1:2]
	v_dual_mov_b32 v1, v5 :: v_dual_and_b32 v70, 0xffff, v2
	s_delay_alu instid0(VALU_DEP_1) | instskip(SKIP_2) | instid1(VALU_DEP_4)
	v_mad_co_u64_u32 v[3:4], null, s16, v70, 0
	v_lshlrev_b32_e32 v56, 2, v70
	v_add_nc_u32_e32 v98, 0x13b, v70
	v_lshlrev_b64_e32 v[0:1], 2, v[0:1]
	s_clause 0x4
	global_load_b32 v73, v56, s[8:9]
	global_load_b32 v72, v56, s[8:9] offset:252
	global_load_b32 v66, v56, s[8:9] offset:504
	;; [unrolled: 1-line block ×4, first 2 shown]
	v_mad_co_u64_u32 v[6:7], null, s17, v70, v[4:5]
	v_add_co_u32 v0, vcc_lo, s14, v0
	v_add_co_ci_u32_e32 v1, vcc_lo, s15, v1, vcc_lo
	s_clause 0x2
	global_load_b32 v69, v56, s[8:9] offset:1764
	global_load_b32 v74, v56, s[8:9] offset:1512
	;; [unrolled: 1-line block ×3, first 2 shown]
	v_dual_mov_b32 v4, v6 :: v_dual_add_nc_u32 v5, 0x800, v56
	s_clause 0x3
	global_load_b32 v65, v56, s[8:9] offset:2016
	global_load_b32 v61, v56, s[8:9] offset:2268
	;; [unrolled: 1-line block ×4, first 2 shown]
	v_add_nc_u32_e32 v95, 0x600, v56
	v_add_co_u32 v6, null, 0xbd, v70
	v_lshlrev_b64_e32 v[3:4], 2, v[3:4]
	v_add_co_u32 v7, null, 0x7e, v70
	v_lshlrev_b32_e32 v24, 1, v70
	s_delay_alu instid0(VALU_DEP_4)
	v_and_b32_e32 v27, 1, v6
	v_lshlrev_b32_e32 v81, 3, v70
	v_add_co_u32 v0, vcc_lo, v0, v3
	s_wait_alu 0xfffd
	v_add_co_ci_u32_e32 v1, vcc_lo, v1, v4, vcc_lo
	v_lshlrev_b32_e32 v85, 3, v7
	s_delay_alu instid0(VALU_DEP_3) | instskip(SKIP_1) | instid1(VALU_DEP_3)
	v_add_co_u32 v3, vcc_lo, v0, s4
	s_wait_alu 0xfffd
	v_add_co_ci_u32_e32 v4, vcc_lo, s5, v1, vcc_lo
	global_load_b32 v9, v[0:1], off
	v_lshlrev_b32_e32 v87, 3, v6
	v_lshlrev_b32_e32 v28, 2, v24
	global_load_b32 v10, v[3:4], off
	v_add_co_u32 v0, vcc_lo, v3, s2
	s_wait_alu 0xfffd
	v_add_co_ci_u32_e32 v1, vcc_lo, s3, v4, vcc_lo
	v_lshlrev_b32_e32 v31, 2, v27
	s_delay_alu instid0(VALU_DEP_3) | instskip(SKIP_1) | instid1(VALU_DEP_3)
	v_add_co_u32 v3, vcc_lo, v0, s4
	s_wait_alu 0xfffd
	v_add_co_ci_u32_e32 v4, vcc_lo, s5, v1, vcc_lo
	s_clause 0x1
	global_load_b32 v11, v[0:1], off
	global_load_b32 v12, v[3:4], off
	v_add_co_u32 v0, vcc_lo, v3, s2
	s_wait_alu 0xfffd
	v_add_co_ci_u32_e32 v1, vcc_lo, s3, v4, vcc_lo
	v_add_nc_u32_e32 v107, 0x1f8, v24
	s_delay_alu instid0(VALU_DEP_3) | instskip(SKIP_1) | instid1(VALU_DEP_3)
	v_add_co_u32 v3, vcc_lo, v0, s4
	s_wait_alu 0xfffd
	v_add_co_ci_u32_e32 v4, vcc_lo, s5, v1, vcc_lo
	global_load_b32 v13, v[0:1], off
	global_load_b32 v14, v[3:4], off
	v_add_co_u32 v0, vcc_lo, v3, s2
	s_wait_alu 0xfffd
	v_add_co_ci_u32_e32 v1, vcc_lo, s3, v4, vcc_lo
	s_delay_alu instid0(VALU_DEP_2) | instskip(SKIP_1) | instid1(VALU_DEP_2)
	v_add_co_u32 v3, vcc_lo, v0, s4
	s_wait_alu 0xfffd
	v_add_co_ci_u32_e32 v4, vcc_lo, s5, v1, vcc_lo
	global_load_b32 v15, v[0:1], off
	v_add_co_u32 v0, vcc_lo, v3, s2
	s_wait_alu 0xfffd
	v_add_co_ci_u32_e32 v1, vcc_lo, s3, v4, vcc_lo
	global_load_b32 v16, v[3:4], off
	;; [unrolled: 4-line block ×5, first 2 shown]
	global_load_b32 v1, v[3:4], off
	v_add_nc_u32_e32 v4, 0x400, v56
	v_cmp_gt_u16_e32 vcc_lo, 36, v2
	v_add_nc_u32_e32 v89, 0x200, v56
	s_load_b128 s[4:7], s[6:7], 0x0
	v_add_co_u32 v3, null, v70, 63
	s_delay_alu instid0(VALU_DEP_1)
	v_lshlrev_b32_e32 v86, 3, v3
	s_wait_loadcnt 0x17
	v_lshrrev_b32_e32 v77, 16, v73
	s_wait_loadcnt 0x16
	v_lshrrev_b32_e32 v75, 16, v72
	;; [unrolled: 2-line block ×10, first 2 shown]
	v_lshrrev_b32_e32 v55, 16, v54
	s_wait_loadcnt 0xc
	v_lshrrev_b32_e32 v53, 16, v52
	s_wait_loadcnt 0xb
	v_lshrrev_b32_e32 v19, 16, v9
	v_mul_f16_e32 v20, v77, v9
	s_wait_loadcnt 0xa
	v_lshrrev_b32_e32 v22, 16, v10
	v_mul_f16_e32 v23, v76, v10
	v_mul_f16_e32 v21, v77, v19
	v_fma_f16 v19, v73, v19, -v20
	s_delay_alu instid0(VALU_DEP_2)
	v_fmac_f16_e32 v21, v73, v9
	v_mul_f16_e32 v9, v76, v22
	v_fma_f16 v22, v74, v22, -v23
	s_wait_loadcnt 0x9
	v_lshrrev_b32_e32 v20, 16, v11
	v_mul_f16_e32 v23, v75, v11
	v_fmac_f16_e32 v9, v74, v10
	v_pack_b32_f16 v19, v21, v19
	s_wait_loadcnt 0x8
	v_lshrrev_b32_e32 v21, 16, v12
	v_mul_f16_e32 v10, v75, v20
	v_fma_f16 v20, v72, v20, -v23
	v_pack_b32_f16 v9, v9, v22
	v_mul_f16_e32 v25, v71, v12
	s_delay_alu instid0(VALU_DEP_4)
	v_fmac_f16_e32 v10, v72, v11
	v_mul_f16_e32 v11, v71, v21
	s_wait_loadcnt 0x7
	v_lshrrev_b32_e32 v22, 16, v13
	v_mul_f16_e32 v23, v68, v13
	ds_store_b32 v56, v9 offset:1512
	v_pack_b32_f16 v9, v10, v20
	v_fma_f16 v21, v69, v21, -v25
	v_mul_f16_e32 v10, v68, v22
	v_fmac_f16_e32 v11, v69, v12
	s_wait_loadcnt 0x6
	v_lshrrev_b32_e32 v20, 16, v14
	v_fma_f16 v12, v66, v22, -v23
	v_mul_f16_e32 v22, v67, v14
	v_fmac_f16_e32 v10, v66, v13
	s_wait_loadcnt 0x5
	v_lshrrev_b32_e32 v13, 16, v15
	ds_store_2addr_b32 v56, v19, v9 offset1:63
	v_pack_b32_f16 v9, v11, v21
	v_mul_f16_e32 v11, v67, v20
	v_mul_f16_e32 v19, v64, v15
	v_pack_b32_f16 v10, v10, v12
	v_mul_f16_e32 v12, v64, v13
	v_fma_f16 v20, v65, v20, -v22
	v_fmac_f16_e32 v11, v65, v14
	s_wait_loadcnt 0x4
	v_lshrrev_b32_e32 v14, 16, v16
	v_fma_f16 v13, v62, v13, -v19
	v_mul_f16_e32 v19, v63, v16
	v_fmac_f16_e32 v12, v62, v15
	s_wait_loadcnt 0x3
	v_lshrrev_b32_e32 v15, 16, v17
	v_pack_b32_f16 v11, v11, v20
	v_mul_f16_e32 v20, v63, v14
	v_fma_f16 v14, v61, v14, -v19
	v_mul_f16_e32 v19, v60, v17
	v_pack_b32_f16 v12, v12, v13
	v_mul_f16_e32 v13, v60, v15
	v_fmac_f16_e32 v20, v61, v16
	s_wait_loadcnt 0x2
	v_lshrrev_b32_e32 v16, 16, v18
	v_fma_f16 v15, v59, v15, -v19
	v_mul_f16_e32 v19, v58, v18
	v_fmac_f16_e32 v13, v59, v17
	s_wait_loadcnt 0x1
	v_lshrrev_b32_e32 v17, 16, v0
	s_wait_loadcnt 0x0
	v_lshrrev_b32_e32 v22, 16, v1
	v_mul_f16_e32 v21, v58, v16
	v_fma_f16 v16, v57, v16, -v19
	v_mul_f16_e32 v19, v55, v0
	v_mul_f16_e32 v23, v55, v17
	;; [unrolled: 1-line block ×4, first 2 shown]
	v_fmac_f16_e32 v21, v57, v18
	v_fma_f16 v17, v54, v17, -v19
	v_fmac_f16_e32 v23, v54, v0
	v_fma_f16 v0, v52, v22, -v25
	v_fmac_f16_e32 v26, v52, v1
	v_pack_b32_f16 v1, v20, v14
	v_pack_b32_f16 v14, v21, v16
	;; [unrolled: 1-line block ×5, first 2 shown]
	ds_store_2addr_b32 v4, v9, v11 offset0:185 offset1:248
	ds_store_2addr_b32 v56, v10, v12 offset0:126 offset1:189
	ds_store_2addr_b32 v5, v1, v14 offset0:55 offset1:118
	ds_store_2addr_b32 v89, v13, v15 offset0:124 offset1:187
	ds_store_b32 v56, v0 offset:2772
	global_wb scope:SCOPE_SE
	s_wait_dscnt 0x0
	s_wait_kmcnt 0x0
	s_barrier_signal -1
	s_barrier_wait -1
	global_inv scope:SCOPE_SE
	ds_load_2addr_b32 v[0:1], v56 offset1:63
	ds_load_2addr_b32 v[9:10], v4 offset0:122 offset1:185
	ds_load_2addr_b32 v[11:12], v56 offset0:126 offset1:189
	ds_load_2addr_b32 v[13:14], v95 offset0:120 offset1:183
	ds_load_2addr_b32 v[15:16], v89 offset0:124 offset1:187
	ds_load_2addr_b32 v[17:18], v5 offset0:118 offset1:181
	v_and_b32_e32 v25, 1, v70
	v_and_b32_e32 v26, 1, v98
	global_wb scope:SCOPE_SE
	s_wait_dscnt 0x0
	s_barrier_signal -1
	s_barrier_wait -1
	v_lshlrev_b32_e32 v29, 2, v25
	v_lshlrev_b32_e32 v30, 2, v26
	global_inv scope:SCOPE_SE
	v_pk_add_f16 v19, v0, v9 neg_lo:[0,1] neg_hi:[0,1]
	v_pk_add_f16 v10, v1, v10 neg_lo:[0,1] neg_hi:[0,1]
	;; [unrolled: 1-line block ×6, first 2 shown]
	v_pk_fma_f16 v18, v0, 2.0, v19 op_sel_hi:[1,0,1] neg_lo:[0,0,1] neg_hi:[0,0,1]
	v_pk_fma_f16 v9, v1, 2.0, v10 op_sel_hi:[1,0,1] neg_lo:[0,0,1] neg_hi:[0,0,1]
	;; [unrolled: 1-line block ×6, first 2 shown]
	ds_store_b64 v81, v[18:19]
	ds_store_b64 v86, v[9:10]
	;; [unrolled: 1-line block ×4, first 2 shown]
	ds_store_b64 v28, v[22:23] offset:2016
	ds_store_b64 v81, v[16:17] offset:2520
	v_and_b32_e32 v9, 1, v3
	global_wb scope:SCOPE_SE
	s_wait_dscnt 0x0
	s_barrier_signal -1
	s_barrier_wait -1
	global_inv scope:SCOPE_SE
	s_clause 0x3
	global_load_b32 v78, v29, s[10:11]
	global_load_b32 v79, v30, s[10:11]
	global_load_u16 v80, v31, s[10:11] offset:2
	global_load_u16 v83, v30, s[10:11] offset:2
	v_lshlrev_b32_e32 v0, 2, v9
	global_load_u16 v82, v31, s[10:11]
	v_lshlrev_b32_e32 v10, 1, v3
	v_lshlrev_b32_e32 v11, 1, v7
	;; [unrolled: 1-line block ×3, first 2 shown]
	global_load_u16 v84, v0, s[10:11]
	v_and_or_b32 v13, 0x7c, v24, v25
	v_lshlrev_b32_e32 v14, 1, v98
	v_and_or_b32 v24, 0xfc, v10, v9
	v_and_or_b32 v28, 0x1fc, v11, v25
	;; [unrolled: 1-line block ×3, first 2 shown]
	ds_load_2addr_b32 v[9:10], v56 offset1:63
	ds_load_2addr_b32 v[11:12], v4 offset0:122 offset1:185
	v_lshlrev_b32_e32 v88, 2, v13
	v_and_or_b32 v26, 0x2fc, v14, v26
	ds_load_2addr_b32 v[13:14], v56 offset0:126 offset1:189
	ds_load_2addr_b32 v[15:16], v95 offset0:120 offset1:183
	;; [unrolled: 1-line block ×4, first 2 shown]
	v_and_or_b32 v25, 0x3fc, v107, v25
	v_lshlrev_b32_e32 v92, 2, v27
	v_lshlrev_b32_e32 v90, 2, v24
	;; [unrolled: 1-line block ×5, first 2 shown]
	v_and_b32_e32 v0, 3, v70
	v_and_b32_e32 v1, 3, v3
	v_and_b32_e32 v17, 3, v7
	v_and_b32_e32 v18, 3, v6
	global_wb scope:SCOPE_SE
	s_wait_loadcnt_dscnt 0x0
	v_lshlrev_b32_e32 v23, 3, v0
	v_lshlrev_b32_e32 v29, 3, v1
	;; [unrolled: 1-line block ×3, first 2 shown]
	v_lshrrev_b32_e32 v24, 16, v9
	v_lshrrev_b32_e32 v25, 16, v11
	;; [unrolled: 1-line block ×12, first 2 shown]
	v_lshlrev_b32_e32 v31, 3, v18
	s_barrier_signal -1
	s_barrier_wait -1
	global_inv scope:SCOPE_SE
	v_lshrrev_b32_e32 v96, 16, v78
	v_lshrrev_b32_e32 v97, 16, v79
	v_mul_f16_e32 v40, v16, v80
	v_mul_f16_e32 v42, v22, v83
	;; [unrolled: 1-line block ×10, first 2 shown]
	v_fmac_f16_e32 v40, v34, v82
	v_mul_f16_e32 v34, v36, v96
	v_fmac_f16_e32 v42, v38, v79
	v_mul_f16_e32 v38, v21, v96
	v_fma_f16 v11, v11, v78, -v43
	v_fmac_f16_e32 v45, v25, v78
	v_fma_f16 v16, v16, v82, -v39
	v_fma_f16 v12, v12, v84, -v44
	v_fmac_f16_e32 v46, v27, v84
	v_fma_f16 v15, v15, v78, -v47
	v_fmac_f16_e32 v48, v32, v78
	v_fma_f16 v22, v22, v79, -v41
	v_fma_f16 v21, v21, v78, -v34
	v_fmac_f16_e32 v38, v36, v78
	v_sub_f16_e32 v11, v9, v11
	v_sub_f16_e32 v32, v24, v45
	;; [unrolled: 1-line block ×12, first 2 shown]
	v_fma_f16 v9, v9, 2.0, -v11
	v_fma_f16 v24, v24, 2.0, -v32
	;; [unrolled: 1-line block ×4, first 2 shown]
	v_pack_b32_f16 v16, v16, v25
	v_fma_f16 v10, v10, 2.0, -v12
	v_fma_f16 v25, v26, 2.0, -v34
	;; [unrolled: 1-line block ×6, first 2 shown]
	v_pack_b32_f16 v22, v22, v27
	v_fma_f16 v19, v19, 2.0, -v21
	v_fma_f16 v27, v35, 2.0, -v38
	v_pack_b32_f16 v11, v11, v32
	v_pack_b32_f16 v9, v9, v24
	;; [unrolled: 1-line block ×10, first 2 shown]
	ds_store_2addr_b32 v88, v9, v11 offset1:2
	ds_store_2addr_b32 v90, v10, v12 offset1:2
	;; [unrolled: 1-line block ×6, first 2 shown]
	global_wb scope:SCOPE_SE
	s_wait_dscnt 0x0
	s_barrier_signal -1
	s_barrier_wait -1
	global_inv scope:SCOPE_SE
	s_clause 0x3
	global_load_b64 v[15:16], v23, s[10:11] offset:8
	global_load_b64 v[13:14], v29, s[10:11] offset:8
	global_load_b64 v[11:12], v30, s[10:11] offset:8
	global_load_b64 v[9:10], v31, s[10:11] offset:8
	v_and_b32_e32 v19, 0xff, v2
	v_lshrrev_b32_e32 v21, 2, v3
	v_lshrrev_b32_e32 v23, 2, v6
	v_and_b32_e32 v28, 0xff, v3
	v_lshrrev_b32_e32 v20, 2, v70
	v_mul_lo_u16 v19, 0xab, v19
	v_and_b32_e32 v29, 0xff, v7
	v_and_b32_e32 v30, 0xff, v6
	v_lshrrev_b32_e32 v22, 2, v7
	v_mul_u32_u24_e32 v20, 12, v20
	v_lshrrev_b16 v27, 11, v19
	v_mul_u32_u24_e32 v19, 12, v21
	v_mul_u32_u24_e32 v21, 12, v23
	v_mul_lo_u16 v23, 0xab, v28
	v_mul_lo_u16 v24, 0xab, v29
	;; [unrolled: 1-line block ×3, first 2 shown]
	v_or_b32_e32 v1, v19, v1
	v_or_b32_e32 v0, v20, v0
	v_lshrrev_b16 v32, 11, v23
	v_mul_u32_u24_e32 v20, 12, v22
	v_mul_lo_u16 v22, v27, 12
	v_lshrrev_b16 v33, 11, v24
	v_lshrrev_b16 v34, 11, v25
	v_lshlrev_b32_e32 v100, 2, v1
	v_mul_lo_u16 v1, v32, 12
	v_lshlrev_b32_e32 v99, 2, v0
	v_or_b32_e32 v0, v20, v17
	v_sub_nc_u16 v17, v2, v22
	v_or_b32_e32 v31, v21, v18
	v_mul_lo_u16 v21, v33, 12
	v_mul_lo_u16 v22, v34, 12
	v_sub_nc_u16 v23, v3, v1
	v_lshlrev_b32_e32 v101, 2, v0
	v_and_b32_e32 v35, 0xff, v17
	ds_load_2addr_b32 v[0:1], v56 offset1:63
	ds_load_2addr_b32 v[17:18], v89 offset0:124 offset1:187
	ds_load_2addr_b32 v[19:20], v95 offset0:120 offset1:183
	v_sub_nc_u16 v25, v7, v21
	v_sub_nc_u16 v26, v6, v22
	v_and_b32_e32 v36, 0xff, v23
	ds_load_2addr_b32 v[21:22], v4 offset0:122 offset1:185
	ds_load_2addr_b32 v[23:24], v5 offset0:118 offset1:181
	v_lshlrev_b32_e32 v102, 2, v31
	v_and_b32_e32 v37, 0xff, v25
	v_and_b32_e32 v38, 0xff, v26
	ds_load_2addr_b32 v[25:26], v56 offset0:126 offset1:189
	v_lshlrev_b32_e32 v31, 3, v35
	v_lshlrev_b32_e32 v39, 3, v36
	;; [unrolled: 1-line block ×4, first 2 shown]
	global_wb scope:SCOPE_SE
	s_wait_loadcnt_dscnt 0x0
	s_barrier_signal -1
	s_barrier_wait -1
	global_inv scope:SCOPE_SE
	v_mul_lo_u16 v29, v29, 57
	v_lshrrev_b32_e32 v42, 16, v0
	v_lshrrev_b32_e32 v43, 16, v17
	;; [unrolled: 1-line block ×12, first 2 shown]
	v_mul_lo_u16 v30, v30, 57
	v_mul_lo_u16 v28, v28, 57
	;; [unrolled: 1-line block ×3, first 2 shown]
	v_lshrrev_b32_e32 v114, 16, v15
	v_lshrrev_b32_e32 v115, 16, v16
	;; [unrolled: 1-line block ×8, first 2 shown]
	v_mul_f16_e32 v105, v43, v114
	v_mul_f16_e32 v116, v17, v114
	v_mul_f16_e32 v117, v44, v115
	v_mul_f16_e32 v118, v19, v115
	v_mul_f16_e32 v106, v46, v112
	v_mul_f16_e32 v119, v18, v112
	v_mul_f16_e32 v120, v47, v113
	v_mul_f16_e32 v121, v20, v113
	v_mul_f16_e32 v122, v48, v110
	v_mul_f16_e32 v123, v50, v108
	v_mul_f16_e32 v124, v21, v110
	v_mul_f16_e32 v125, v49, v111
	v_mul_f16_e32 v126, v22, v108
	v_mul_f16_e32 v127, v51, v109
	v_mul_f16_e64 v128, v24, v109
	v_mul_f16_e64 v129, v23, v111
	v_fma_f16 v17, v17, v15, -v105
	v_fmac_f16_e32 v116, v43, v15
	v_fma_f16 v19, v19, v16, -v117
	v_fmac_f16_e32 v118, v44, v16
	;; [unrolled: 2-line block ×4, first 2 shown]
	v_fma_f16 v21, v21, v11, -v122
	v_fma_f16 v22, v22, v9, -v123
	;; [unrolled: 1-line block ×4, first 2 shown]
	v_fmac_f16_e32 v126, v50, v9
	v_fmac_f16_e64 v128, v51, v10
	v_fmac_f16_e32 v124, v48, v11
	v_fmac_f16_e64 v129, v49, v12
	v_add_f16_e32 v44, v17, v19
	v_add_f16_e32 v48, v116, v118
	;; [unrolled: 1-line block ×5, first 2 shown]
	v_sub_f16_e32 v46, v116, v118
	v_add_f16_e32 v47, v42, v116
	v_add_f16_e32 v49, v1, v18
	;; [unrolled: 1-line block ×3, first 2 shown]
	v_sub_f16_e32 v106, v119, v121
	v_add_f16_e32 v116, v22, v24
	v_add_f16_e64 v119, v126, v128
	v_add_f16_e32 v120, v103, v126
	v_sub_f16_e64 v122, v126, v128
	v_add_f16_e32 v123, v21, v23
	v_add_f16_e32 v125, v25, v21
	;; [unrolled: 1-line block ×3, first 2 shown]
	v_add_f16_e64 v127, v124, v129
	v_sub_f16_e32 v17, v17, v19
	v_add_f16_e32 v117, v26, v22
	v_fmac_f16_e32 v42, -0.5, v48
	v_fma_f16 v0, -0.5, v44, v0
	v_sub_f16_e32 v18, v18, v20
	v_fmac_f16_e32 v1, -0.5, v50
	v_fmac_f16_e32 v45, -0.5, v105
	v_sub_f16_e32 v22, v22, v24
	v_sub_f16_e32 v21, v21, v23
	v_sub_f16_e64 v124, v124, v129
	v_add_f16_e32 v19, v43, v19
	v_add_f16_e32 v43, v47, v118
	;; [unrolled: 1-line block ×4, first 2 shown]
	v_fmac_f16_e32 v26, -0.5, v116
	v_fmac_f16_e32 v103, -0.5, v119
	v_fma_f16 v25, -0.5, v123, v25
	v_add_f16_e32 v23, v125, v23
	v_add_f16_e64 v47, v126, v129
	v_fmac_f16_e32 v104, -0.5, v127
	v_add_f16_e32 v24, v117, v24
	v_add_f16_e64 v48, v120, v128
	v_fmamk_f16 v49, v46, 0x3aee, v0
	v_fmac_f16_e32 v0, 0xbaee, v46
	v_fmamk_f16 v46, v17, 0xbaee, v42
	v_fmac_f16_e32 v42, 0x3aee, v17
	v_fmamk_f16 v17, v106, 0x3aee, v1
	v_fmamk_f16 v50, v18, 0xbaee, v45
	v_fmac_f16_e32 v1, 0xbaee, v106
	v_fmac_f16_e32 v45, 0x3aee, v18
	v_pack_b32_f16 v18, v19, v43
	v_pack_b32_f16 v19, v20, v44
	v_fmamk_f16 v20, v122, 0x3aee, v26
	v_fmamk_f16 v43, v22, 0xbaee, v103
	v_fmac_f16_e32 v103, 0x3aee, v22
	v_pack_b32_f16 v22, v23, v47
	v_fmamk_f16 v23, v124, 0x3aee, v25
	v_fmamk_f16 v44, v21, 0xbaee, v104
	v_fmac_f16_e32 v26, 0xbaee, v122
	v_fmac_f16_e32 v25, 0xbaee, v124
	;; [unrolled: 1-line block ×3, first 2 shown]
	v_pack_b32_f16 v21, v24, v48
	v_pack_b32_f16 v24, v49, v46
	;; [unrolled: 1-line block ×9, first 2 shown]
	ds_store_2addr_b32 v99, v18, v24 offset1:4
	ds_store_b32 v99, v0 offset:32
	ds_store_2addr_b32 v100, v19, v17 offset1:4
	ds_store_b32 v100, v1 offset:32
	;; [unrolled: 2-line block ×4, first 2 shown]
	global_wb scope:SCOPE_SE
	s_wait_dscnt 0x0
	s_barrier_signal -1
	s_barrier_wait -1
	global_inv scope:SCOPE_SE
	s_clause 0x3
	global_load_b64 v[23:24], v31, s[10:11] offset:40
	global_load_b64 v[21:22], v39, s[10:11] offset:40
	;; [unrolled: 1-line block ×4, first 2 shown]
	v_add_co_u32 v0, s2, 0xffffffdc, v70
	s_wait_alu 0xf1ff
	v_add_co_ci_u32_e64 v1, null, 0, -1, s2
	v_lshrrev_b16 v39, 11, v29
	s_delay_alu instid0(VALU_DEP_3) | instskip(SKIP_1) | instid1(VALU_DEP_4)
	v_cndmask_b32_e32 v0, v0, v70, vcc_lo
	v_lshrrev_b16 v40, 11, v30
	v_cndmask_b32_e64 v1, v1, 0, vcc_lo
	v_lshrrev_b16 v41, 11, v28
	v_and_b32_e32 v29, 0xffff, v34
	v_mul_lo_u16 v30, v39, 36
	v_mul_lo_u16 v31, v40, 36
	v_lshlrev_b64_e32 v[25:26], 3, v[0:1]
	v_and_b32_e32 v1, 0xfc, v27
	v_and_b32_e32 v27, 0xffff, v32
	v_mul_lo_u16 v32, v41, 36
	v_and_b32_e32 v28, 0xffff, v33
	v_mul_u32_u24_e32 v43, 36, v29
	v_sub_nc_u16 v33, v6, v31
	v_add_lshl_u32 v103, v1, v35, 2
	v_sub_nc_u16 v29, v3, v32
	v_sub_nc_u16 v32, v7, v30
	v_mul_u32_u24_e32 v1, 36, v27
	v_mul_u32_u24_e32 v42, 36, v28
	ds_load_2addr_b32 v[27:28], v89 offset0:124 offset1:187
	ds_load_2addr_b32 v[6:7], v95 offset0:120 offset1:183
	v_and_b32_e32 v45, 0xff, v32
	ds_load_2addr_b32 v[31:32], v4 offset0:122 offset1:185
	v_and_b32_e32 v46, 0xff, v33
	;; [unrolled: 2-line block ×3, first 2 shown]
	ds_load_2addr_b32 v[29:30], v56 offset1:63
	v_add_lshl_u32 v105, v1, v36, 2
	ds_load_2addr_b32 v[35:36], v56 offset0:126 offset1:189
	v_add_lshl_u32 v106, v42, v37, 2
	v_add_lshl_u32 v104, v43, v38, 2
	v_add_co_u32 v25, vcc_lo, s10, v25
	s_wait_alu 0xfffd
	v_add_co_ci_u32_e32 v26, vcc_lo, s11, v26, vcc_lo
	v_lshlrev_b32_e32 v1, 3, v44
	v_lshlrev_b32_e32 v37, 3, v45
	;; [unrolled: 1-line block ×3, first 2 shown]
	global_wb scope:SCOPE_SE
	s_wait_loadcnt_dscnt 0x0
	v_lshrrev_b32_e32 v42, 16, v27
	v_lshrrev_b32_e32 v43, 16, v28
	v_lshrrev_b32_e32 v47, 16, v6
	v_lshrrev_b32_e32 v48, 16, v7
	v_lshrrev_b32_e32 v51, 16, v31
	v_lshrrev_b32_e32 v116, 16, v32
	v_lshrrev_b32_e32 v117, 16, v33
	v_lshrrev_b32_e32 v118, 16, v34
	v_lshrrev_b32_e32 v50, 16, v29
	v_lshrrev_b32_e32 v49, 16, v30
	v_lshrrev_b32_e32 v119, 16, v36
	v_lshrrev_b32_e32 v128, 16, v35
	s_barrier_signal -1
	s_barrier_wait -1
	global_inv scope:SCOPE_SE
	v_cmp_lt_u16_e32 vcc_lo, 35, v2
	v_and_b32_e32 v39, 0xffff, v39
	s_load_b64 s[2:3], s[0:1], 0x38
	v_lshrrev_b32_e32 v126, 16, v23
	v_lshrrev_b32_e32 v124, 16, v21
	;; [unrolled: 1-line block ×8, first 2 shown]
	v_mul_f16_e64 v129, v42, v126
	v_mul_f16_e64 v130, v43, v124
	v_mul_f16_e64 v131, v27, v126
	v_mul_f16_e64 v132, v28, v124
	v_mul_f16_e64 v133, v47, v127
	v_mul_f16_e64 v134, v48, v125
	v_mul_f16_e64 v135, v7, v125
	v_mul_f16_e64 v136, v6, v127
	v_mul_f16_e64 v137, v51, v122
	v_mul_f16_e64 v138, v116, v120
	v_mul_f16_e64 v139, v31, v122
	v_mul_f16_e64 v140, v32, v120
	v_mul_f16_e64 v141, v117, v123
	v_mul_f16_e64 v142, v118, v121
	v_mul_f16_e64 v143, v34, v121
	v_mul_f16_e64 v144, v33, v123
	v_fma_f16 v27, v27, v23, -v129
	v_fma_f16 v28, v28, v21, -v130
	;; [unrolled: 1-line block ×4, first 2 shown]
	v_fmac_f16_e64 v132, v43, v21
	v_fmac_f16_e64 v135, v48, v22
	;; [unrolled: 1-line block ×4, first 2 shown]
	v_fma_f16 v31, v31, v19, -v137
	v_fma_f16 v32, v32, v17, -v138
	;; [unrolled: 1-line block ×4, first 2 shown]
	v_fmac_f16_e64 v140, v116, v17
	v_fmac_f16_e64 v143, v118, v18
	;; [unrolled: 1-line block ×4, first 2 shown]
	v_add_f16_e32 v42, v28, v7
	v_add_f16_e64 v47, v132, v135
	v_add_f16_e32 v116, v27, v6
	v_add_f16_e32 v117, v29, v27
	v_add_f16_e64 v118, v50, v131
	v_add_f16_e64 v129, v131, v136
	v_add_f16_e32 v43, v30, v28
	v_add_f16_e64 v48, v49, v132
	v_sub_f16_e64 v130, v131, v136
	v_add_f16_e64 v131, v32, v34
	v_add_f16_e64 v133, v140, v143
	;; [unrolled: 1-line block ×3, first 2 shown]
	v_sub_f16_e64 v137, v140, v143
	v_add_f16_e64 v138, v31, v33
	v_add_f16_e64 v140, v35, v31
	;; [unrolled: 1-line block ×4, first 2 shown]
	v_sub_f16_e64 v51, v132, v135
	v_sub_f16_e32 v28, v28, v7
	v_sub_f16_e32 v27, v27, v6
	v_fmac_f16_e32 v30, -0.5, v42
	v_fmac_f16_e32 v49, -0.5, v47
	v_fma_f16 v29, -0.5, v116, v29
	v_add_f16_e32 v6, v117, v6
	v_add_f16_e64 v42, v118, v136
	v_fmac_f16_e64 v50, -0.5, v129
	v_add_f16_e64 v132, v36, v32
	v_sub_f16_e32 v32, v32, v34
	v_sub_f16_e32 v31, v31, v33
	v_sub_f16_e64 v139, v139, v144
	v_add_f16_e32 v7, v43, v7
	v_add_f16_e64 v43, v48, v135
	v_fmac_f16_e64 v36, -0.5, v131
	v_fmac_f16_e64 v119, -0.5, v133
	v_fma_f16 v35, -0.5, v138, v35
	v_add_f16_e64 v33, v140, v33
	v_add_f16_e64 v47, v141, v144
	v_fmac_f16_e64 v128, -0.5, v142
	v_fmamk_f16 v116, v51, 0x3aee, v30
	v_fmac_f16_e32 v30, 0xbaee, v51
	v_fmamk_f16 v51, v28, 0xbaee, v49
	v_fmac_f16_e32 v49, 0x3aee, v28
	v_pack_b32_f16 v6, v6, v42
	v_fma_f16 v28, 0x3aee, v130, v29
	v_fmamk_f16 v42, v27, 0xbaee, v50
	v_fmac_f16_e64 v29, 0xbaee, v130
	v_fmac_f16_e32 v50, 0x3aee, v27
	v_add_f16_e64 v34, v132, v34
	v_add_f16_e64 v48, v134, v143
	v_pack_b32_f16 v7, v7, v43
	v_fma_f16 v27, 0x3aee, v137, v36
	v_fmamk_f16 v43, v32, 0xbaee, v119
	v_fmac_f16_e32 v119, 0x3aee, v32
	v_pack_b32_f16 v32, v33, v47
	v_fma_f16 v33, 0x3aee, v139, v35
	v_fma_f16 v47, 0xbaee, v31, v128
	v_fmac_f16_e64 v36, 0xbaee, v137
	v_fmac_f16_e64 v35, 0xbaee, v139
	;; [unrolled: 1-line block ×3, first 2 shown]
	v_pack_b32_f16 v28, v28, v42
	v_pack_b32_f16 v29, v29, v50
	;; [unrolled: 1-line block ×9, first 2 shown]
	ds_store_2addr_b32 v103, v6, v28 offset1:12
	ds_store_b32 v103, v29 offset:96
	ds_store_2addr_b32 v105, v7, v34 offset1:12
	ds_store_b32 v105, v30 offset:96
	ds_store_2addr_b32 v106, v32, v33 offset1:12
	ds_store_b32 v106, v35 offset:96
	ds_store_2addr_b32 v104, v31, v27 offset1:12
	ds_store_b32 v104, v36 offset:96
	global_wb scope:SCOPE_SE
	s_wait_dscnt 0x0
	s_wait_kmcnt 0x0
	s_barrier_signal -1
	s_barrier_wait -1
	global_inv scope:SCOPE_SE
	s_clause 0x3
	global_load_b64 v[31:32], v[25:26], off offset:136
	global_load_b64 v[29:30], v1, s[10:11] offset:136
	global_load_b64 v[27:28], v37, s[10:11] offset:136
	;; [unrolled: 1-line block ×3, first 2 shown]
	v_and_b32_e32 v37, 0xffff, v41
	ds_load_2addr_b32 v[6:7], v89 offset0:124 offset1:187
	ds_load_2addr_b32 v[33:34], v95 offset0:120 offset1:183
	v_and_b32_e32 v47, 0xffff, v40
	ds_load_2addr_b32 v[35:36], v56 offset1:63
	v_mul_u32_u24_e32 v48, 0x6c, v37
	ds_load_2addr_b32 v[37:38], v4 offset0:122 offset1:185
	ds_load_2addr_b32 v[42:43], v5 offset0:118 offset1:181
	;; [unrolled: 1-line block ×3, first 2 shown]
	v_cndmask_b32_e64 v1, 0, 0x6c, vcc_lo
	v_mul_u32_u24_e32 v5, 0x6c, v39
	v_mul_u32_u24_e32 v39, 0x6c, v47
	v_add_lshl_u32 v118, v48, v44, 2
	global_wb scope:SCOPE_SE
	s_wait_loadcnt_dscnt 0x0
	v_add_lshl_u32 v119, v0, v1, 2
	v_add_lshl_u32 v117, v5, v45, 2
	;; [unrolled: 1-line block ×3, first 2 shown]
	s_barrier_signal -1
	s_barrier_wait -1
	global_inv scope:SCOPE_SE
	v_cmp_gt_u16_e32 vcc_lo, 45, v2
	v_lshrrev_b32_e32 v0, 16, v6
	v_lshrrev_b32_e32 v5, 16, v33
	;; [unrolled: 1-line block ×20, first 2 shown]
	v_mul_f16_e64 v50, v0, v134
	v_mul_f16_e64 v136, v6, v134
	v_mul_f16_e64 v137, v7, v132
	v_mul_f16_e64 v138, v5, v135
	v_mul_f16_e64 v140, v33, v135
	v_mul_f16_e64 v141, v34, v133
	v_mul_f16_e64 v51, v1, v132
	v_mul_f16_e64 v139, v39, v133
	v_mul_f16_e64 v142, v37, v131
	v_mul_f16_e64 v145, v42, v130
	v_mul_f16_e64 v146, v44, v131
	v_mul_f16_e64 v147, v45, v130
	v_mul_f16_e64 v148, v48, v129
	v_mul_f16_e64 v149, v38, v129
	v_mul_f16_e64 v150, v49, v128
	v_mul_f16_e64 v151, v43, v128
	v_fma_f16 v6, v6, v31, -v50
	v_fma_f16 v33, v33, v32, -v138
	v_fmac_f16_e64 v136, v0, v31
	v_fmac_f16_e64 v140, v5, v32
	;; [unrolled: 1-line block ×4, first 2 shown]
	v_fma_f16 v7, v7, v29, -v51
	v_fma_f16 v34, v34, v30, -v139
	v_fmac_f16_e64 v142, v44, v27
	v_fmac_f16_e64 v145, v45, v28
	v_fma_f16 v0, v37, v27, -v146
	v_fma_f16 v1, v42, v28, -v147
	;; [unrolled: 1-line block ×4, first 2 shown]
	v_fmac_f16_e64 v149, v48, v25
	v_fmac_f16_e64 v151, v49, v26
	v_add_f16_e64 v42, v137, v141
	v_add_f16_e32 v44, v6, v33
	v_add_f16_e32 v48, v35, v6
	v_add_f16_e64 v49, v47, v136
	v_add_f16_e64 v50, v136, v140
	v_add_f16_e32 v38, v7, v34
	v_add_f16_e64 v43, v46, v137
	v_sub_f16_e64 v45, v137, v141
	v_sub_f16_e64 v51, v136, v140
	v_add_f16_e64 v136, v144, v142
	v_sub_f16_e64 v137, v142, v145
	v_add_f16_e64 v138, v142, v145
	v_add_f16_e64 v142, v0, v1
	;; [unrolled: 1-line block ×4, first 2 shown]
	v_add_f16_e32 v39, v36, v7
	v_sub_f16_e32 v7, v7, v34
	v_sub_f16_e32 v6, v6, v33
	v_fmac_f16_e32 v46, -0.5, v42
	v_fma_f16 v35, -0.5, v44, v35
	v_add_f16_e64 v42, v49, v140
	v_add_f16_e32 v33, v48, v33
	v_fmac_f16_e32 v47, -0.5, v50
	v_fmac_f16_e32 v36, -0.5, v38
	v_add_f16_e64 v139, v40, v0
	v_sub_f16_e32 v0, v0, v1
	v_add_f16_e64 v147, v41, v5
	v_add_f16_e64 v148, v143, v149
	v_sub_f16_e64 v149, v149, v151
	v_sub_f16_e32 v5, v5, v37
	v_fmac_f16_e64 v144, -0.5, v138
	v_fma_f16 v38, -0.5, v142, v40
	v_fmac_f16_e64 v41, -0.5, v146
	v_fmac_f16_e64 v143, -0.5, v150
	v_fmamk_f16 v48, v7, 0xbaee, v46
	v_fmac_f16_e32 v46, 0x3aee, v7
	v_pack_b32_f16 v7, v33, v42
	v_fmamk_f16 v33, v51, 0x3aee, v35
	v_fmamk_f16 v42, v6, 0xbaee, v47
	v_add_f16_e32 v34, v39, v34
	v_add_f16_e64 v39, v43, v141
	v_fmac_f16_e32 v35, 0xbaee, v51
	v_fmac_f16_e32 v47, 0x3aee, v6
	v_fmamk_f16 v40, v45, 0x3aee, v36
	v_fmac_f16_e32 v36, 0xbaee, v45
	v_add_f16_e64 v43, v136, v145
	v_add_f16_e64 v1, v139, v1
	;; [unrolled: 1-line block ×3, first 2 shown]
	v_fma_f16 v37, 0x3aee, v137, v38
	v_fma_f16 v142, 0xbaee, v0, v144
	;; [unrolled: 1-line block ×4, first 2 shown]
	v_fmac_f16_e64 v41, 0xbaee, v149
	v_fmac_f16_e64 v143, 0x3aee, v5
	v_add_f16_e64 v145, v148, v151
	v_fmac_f16_e64 v38, 0xbaee, v137
	v_fmac_f16_e64 v144, 0x3aee, v0
	v_pack_b32_f16 v33, v33, v42
	v_pack_b32_f16 v6, v34, v39
	;; [unrolled: 1-line block ×11, first 2 shown]
	ds_store_2addr_b32 v119, v7, v33 offset1:36
	ds_store_b32 v119, v34 offset:288
	ds_store_2addr_b32 v118, v6, v35 offset1:36
	ds_store_b32 v118, v5 offset:288
	;; [unrolled: 2-line block ×4, first 2 shown]
	global_wb scope:SCOPE_SE
	s_wait_dscnt 0x0
	s_barrier_signal -1
	s_barrier_wait -1
	global_inv scope:SCOPE_SE
	ds_load_b32 v150, v56 offset:2592
	ds_load_2addr_b32 v[42:43], v56 offset1:108
	ds_load_2addr_b32 v[50:51], v89 offset0:88 offset1:196
	ds_load_2addr_b32 v[48:49], v95 offset0:48 offset1:156
	v_add_co_u32 v39, s0, s8, v56
	s_wait_alu 0xf1ff
	v_add_co_ci_u32_e64 v40, null, s9, 0, s0
                                        ; implicit-def: $vgpr148
                                        ; implicit-def: $vgpr147
                                        ; implicit-def: $vgpr149
                                        ; implicit-def: $vgpr47
	s_and_saveexec_b32 s0, vcc_lo
	s_cbranch_execz .LBB0_3
; %bb.2:
	ds_load_2addr_b32 v[37:38], v56 offset0:63 offset1:171
	ds_load_2addr_b32 v[44:45], v4 offset0:23 offset1:131
	;; [unrolled: 1-line block ×3, first 2 shown]
	ds_load_b32 v147, v56 offset:2844
	s_wait_dscnt 0x3
	v_lshrrev_b32_e32 v142, 16, v37
	v_lshrrev_b32_e32 v144, 16, v38
	s_wait_dscnt 0x2
	v_lshrrev_b32_e32 v145, 16, v44
	v_lshrrev_b32_e32 v146, 16, v45
	;; [unrolled: 3-line block ×3, first 2 shown]
	s_wait_dscnt 0x0
	v_lshrrev_b32_e32 v149, 16, v147
	v_mov_b32_e32 v41, v46
.LBB0_3:
	s_wait_alu 0xfffe
	s_or_b32 exec_lo, exec_lo, s0
	v_mad_co_u64_u32 v[0:1], null, v70, 24, s[10:11]
	v_lshlrev_b32_e32 v141, 2, v107
	v_lshlrev_b32_e32 v140, 3, v98
	s_wait_dscnt 0x2
	v_lshrrev_b32_e32 v46, 16, v43
	s_wait_dscnt 0x1
	v_lshrrev_b32_e32 v152, 16, v50
	v_lshrrev_b32_e32 v153, 16, v51
	s_wait_dscnt 0x0
	v_lshrrev_b32_e32 v154, 16, v48
	s_clause 0x1
	global_load_b128 v[4:7], v[0:1], off offset:424
	global_load_b64 v[35:36], v[0:1], off offset:440
	v_subrev_nc_u32_e32 v0, 45, v70
	v_lshrrev_b32_e32 v155, 16, v49
	v_lshrrev_b32_e32 v156, 16, v150
	v_lshrrev_b32_e32 v151, 16, v42
	s_delay_alu instid0(VALU_DEP_4) | instskip(NEXT) | instid1(VALU_DEP_1)
	v_cndmask_b32_e32 v0, v0, v3, vcc_lo
	v_mul_i32_i24_e32 v1, 24, v0
	v_mul_hi_i32_i24_e32 v0, 24, v0
	s_delay_alu instid0(VALU_DEP_2) | instskip(SKIP_1) | instid1(VALU_DEP_2)
	v_add_co_u32 v33, s0, s10, v1
	s_wait_alu 0xf1ff
	v_add_co_ci_u32_e64 v34, s0, s11, v0, s0
	s_clause 0x1
	global_load_b128 v[0:3], v[33:34], off offset:424
	global_load_b64 v[33:34], v[33:34], off offset:440
	s_wait_loadcnt 0x3
	v_lshrrev_b32_e32 v139, 16, v4
	v_lshrrev_b32_e32 v138, 16, v5
	;; [unrolled: 1-line block ×4, first 2 shown]
	s_wait_loadcnt 0x2
	v_lshrrev_b32_e32 v98, 16, v35
	v_lshrrev_b32_e32 v136, 16, v36
	v_mul_f16_e64 v157, v46, v139
	v_mul_f16_e64 v158, v43, v139
	;; [unrolled: 1-line block ×12, first 2 shown]
	v_fma_f16 v157, v43, v4, -v157
	v_fmac_f16_e64 v158, v46, v4
	v_fma_f16 v159, v50, v5, -v159
	v_fmac_f16_e64 v160, v152, v5
	;; [unrolled: 2-line block ×6, first 2 shown]
	s_wait_loadcnt 0x1
	v_lshrrev_b32_e32 v50, 16, v0
	v_lshrrev_b32_e32 v48, 16, v1
	;; [unrolled: 1-line block ×3, first 2 shown]
	s_wait_loadcnt 0x0
	v_lshrrev_b32_e32 v49, 16, v33
	v_lshrrev_b32_e32 v51, 16, v34
	;; [unrolled: 1-line block ×3, first 2 shown]
	v_add_f16_e64 v155, v157, v150
	v_add_f16_e64 v156, v158, v168
	v_sub_f16_e64 v150, v157, v150
	v_sub_f16_e64 v157, v158, v168
	v_add_f16_e64 v158, v159, v154
	v_add_f16_e64 v161, v160, v166
	v_sub_f16_e64 v154, v159, v154
	v_sub_f16_e64 v159, v160, v166
	;; [unrolled: 4-line block ×3, first 2 shown]
	v_mul_f16_e64 v162, v144, v50
	v_mul_f16_e64 v164, v38, v50
	;; [unrolled: 1-line block ×12, first 2 shown]
	v_add_f16_e64 v175, v158, v155
	v_add_f16_e64 v176, v161, v156
	v_sub_f16_e64 v178, v161, v156
	v_sub_f16_e64 v156, v156, v163
	v_add_f16_e64 v179, v152, v154
	v_add_f16_e64 v180, v153, v159
	v_sub_f16_e64 v181, v152, v154
	v_sub_f16_e64 v182, v153, v159
	;; [unrolled: 1-line block ×4, first 2 shown]
	v_fma_f16 v38, v38, v0, -v162
	v_fmac_f16_e64 v164, v144, v0
	v_fma_f16 v44, v44, v1, -v165
	v_fmac_f16_e64 v166, v145, v1
	v_fmac_f16_e64 v170, v143, v3
	v_fma_f16 v47, v47, v33, -v171
	v_fmac_f16_e64 v172, v148, v33
	v_fma_f16 v143, v147, v34, -v173
	v_fmac_f16_e64 v174, v149, v34
	v_sub_f16_e64 v177, v158, v155
	v_sub_f16_e64 v155, v155, v160
	;; [unrolled: 1-line block ×6, first 2 shown]
	v_fma_f16 v45, v45, v2, -v167
	v_fmac_f16_e64 v168, v146, v2
	v_fma_f16 v41, v41, v3, -v169
	v_add_f16_e64 v145, v160, v175
	v_add_f16_e64 v146, v163, v176
	;; [unrolled: 1-line block ×3, first 2 shown]
	v_mul_f16_e64 v149, 0x3a52, v156
	v_mul_f16_e64 v156, 0xb846, v181
	;; [unrolled: 1-line block ×5, first 2 shown]
	v_add_f16_e64 v163, v38, v143
	v_add_f16_e64 v165, v164, v174
	;; [unrolled: 1-line block ×5, first 2 shown]
	v_mul_f16_e64 v144, 0x3a52, v155
	v_mul_f16_e64 v150, 0x2b26, v158
	;; [unrolled: 1-line block ×3, first 2 shown]
	v_sub_f16_e64 v38, v38, v143
	v_sub_f16_e64 v164, v164, v174
	v_sub_f16_e32 v44, v44, v47
	v_sub_f16_e64 v166, v166, v172
	v_add_f16_e64 v171, v45, v41
	v_add_f16_e64 v172, v168, v170
	v_sub_f16_e32 v41, v41, v45
	v_sub_f16_e64 v168, v170, v168
	v_add_f16_e64 v42, v42, v145
	v_add_f16_e64 v151, v151, v146
	v_fma_f16 v173, 0x3574, v152, v156
	v_fma_f16 v174, 0x3574, v153, v157
	v_fma_f16 v157, v159, 0x3b00, -v157
	v_fma_f16 v159, v152, 0xb574, -v160
	;; [unrolled: 1-line block ×3, first 2 shown]
	v_add_f16_e64 v152, v167, v163
	v_add_f16_e64 v153, v169, v165
	v_fma_f16 v158, 0x2b26, v158, v144
	v_fma_f16 v161, 0x2b26, v161, v149
	v_fma_f16 v150, v177, 0x39e0, -v150
	v_fma_f16 v155, v178, 0x39e0, -v155
	;; [unrolled: 1-line block ×5, first 2 shown]
	v_sub_f16_e64 v45, v167, v163
	v_sub_f16_e64 v143, v169, v165
	;; [unrolled: 1-line block ×6, first 2 shown]
	v_add_f16_e64 v163, v41, v44
	v_add_f16_e64 v165, v168, v166
	v_sub_f16_e64 v167, v41, v44
	v_sub_f16_e64 v169, v168, v166
	v_sub_f16_e32 v44, v44, v38
	v_sub_f16_e64 v166, v166, v164
	v_fma_f16 v175, 0xbcab, v145, v42
	v_fma_f16 v176, 0xbcab, v146, v151
	v_pack_b32_f16 v177, v42, v151
	v_add_f16_e64 v42, v171, v152
	v_add_f16_e64 v171, v172, v153
	v_sub_f16_e32 v41, v38, v41
	v_sub_f16_e64 v168, v164, v168
	v_fmac_f16_e64 v173, 0x370e, v147
	v_fmac_f16_e64 v174, 0x370e, v148
	;; [unrolled: 1-line block ×6, first 2 shown]
	v_add_f16_e64 v152, v163, v38
	v_mul_f16_e64 v38, 0x3a52, v154
	v_mul_f16_e64 v148, 0x3a52, v162
	;; [unrolled: 1-line block ×6, first 2 shown]
	v_add_f16_e64 v44, v158, v175
	v_add_f16_e64 v158, v161, v176
	;; [unrolled: 1-line block ×6, first 2 shown]
	v_add_f16_e32 v37, v37, v42
	v_add_f16_e64 v142, v142, v171
	v_add_f16_e64 v145, v165, v164
	v_fma_f16 v164, 0x2b26, v47, v38
	v_fma_f16 v165, 0x2b26, v144, v148
	v_fma_f16 v38, v45, 0xb9e0, -v38
	v_fma_f16 v166, v143, 0xb9e0, -v148
	v_fma_f16 v148, 0x3574, v41, v151
	v_fma_f16 v149, 0x3574, v168, v146
	v_fma_f16 v153, v41, 0xb574, -v154
	v_fma_f16 v150, v168, 0xb574, -v147
	v_add_f16_e64 v41, v174, v44
	v_sub_f16_e64 v167, v158, v173
	v_add_f16_e64 v168, v160, v162
	v_sub_f16_e64 v169, v163, v159
	v_sub_f16_e64 v170, v161, v157
	v_add_f16_e64 v172, v156, v155
	v_add_f16_e64 v157, v157, v161
	v_sub_f16_e64 v161, v155, v156
	v_sub_f16_e64 v160, v162, v160
	v_add_f16_e64 v159, v159, v163
	v_fma_f16 v155, 0xbcab, v42, v37
	v_fma_f16 v156, 0xbcab, v171, v142
	v_sub_f16_e64 v44, v44, v174
	v_add_f16_e64 v162, v173, v158
	v_fmac_f16_e64 v148, 0x370e, v152
	v_fmac_f16_e64 v149, 0x370e, v145
	;; [unrolled: 1-line block ×4, first 2 shown]
	v_pack_b32_f16 v163, v41, v167
	v_pack_b32_f16 v167, v168, v169
	;; [unrolled: 1-line block ×4, first 2 shown]
	v_add_f16_e64 v157, v38, v155
	v_add_f16_e64 v160, v166, v156
	v_add_f16_e64 v158, v164, v155
	v_add_f16_e64 v159, v165, v156
	v_pack_b32_f16 v162, v44, v162
	v_sub_f16_e64 v38, v157, v150
	v_add_f16_e64 v41, v153, v160
	v_sub_f16_e64 v42, v158, v149
	v_add_f16_e64 v44, v148, v159
	v_pack_b32_f16 v168, v170, v172
	ds_store_2addr_b32 v56, v177, v163 offset1:108
	ds_store_2addr_b32 v89, v167, v168 offset0:88 offset1:196
	ds_store_2addr_b32 v95, v161, v169 offset0:48 offset1:156
	ds_store_b32 v56, v162 offset:2592
	s_and_saveexec_b32 s0, vcc_lo
	s_cbranch_execz .LBB0_5
; %bb.4:
	v_mul_f16_e64 v89, 0x2b26, v144
	v_mul_f16_e64 v95, 0x39e0, v143
	;; [unrolled: 1-line block ×3, first 2 shown]
	v_sub_f16_e64 v144, v154, v151
	v_mul_f16_e32 v47, 0x2b26, v47
	v_mul_f16_e32 v45, 0x39e0, v45
	v_sub_f16_e32 v89, v95, v89
	v_mul_f16_e64 v95, 0x370e, v145
	v_add_f16_e64 v143, v143, v144
	v_sub_f16_e64 v144, v147, v146
	v_sub_f16_e32 v45, v45, v47
	v_add_f16_e64 v47, v89, v156
	v_add_f16_e64 v145, v149, v158
	;; [unrolled: 1-line block ×5, first 2 shown]
	v_sub_f16_e64 v144, v159, v148
	v_sub_f16_e64 v95, v47, v143
	v_add_f16_e64 v47, v143, v47
	v_sub_f16_e64 v143, v160, v153
	v_sub_f16_e64 v147, v45, v89
	v_add_f16_e32 v45, v89, v45
	v_perm_b32 v37, v142, v37, 0x5040100
	v_pack_b32_f16 v89, v145, v144
	v_pack_b32_f16 v142, v146, v143
	;; [unrolled: 1-line block ×3, first 2 shown]
	v_add_nc_u32_e32 v143, 0x400, v56
	v_pack_b32_f16 v45, v45, v95
	v_perm_b32 v95, v41, v38, 0x5040100
	v_add_nc_u32_e32 v144, 0x600, v56
	v_perm_b32 v145, v44, v42, 0x5040100
	ds_store_2addr_b32 v56, v37, v89 offset0:63 offset1:171
	ds_store_2addr_b32 v143, v142, v47 offset0:23 offset1:131
	;; [unrolled: 1-line block ×3, first 2 shown]
	ds_store_b32 v56, v145 offset:2844
.LBB0_5:
	s_wait_alu 0xfffe
	s_or_b32 exec_lo, exec_lo, s0
	global_wb scope:SCOPE_SE
	s_wait_dscnt 0x0
	s_barrier_signal -1
	s_barrier_wait -1
	global_inv scope:SCOPE_SE
	global_load_b32 v37, v[39:40], off offset:3024
	v_lshlrev_b32_e32 v39, 2, v70
	s_add_nc_u64 s[0:1], s[8:9], 0xbd0
	s_clause 0xa
	global_load_b32 v47, v39, s[0:1] offset:252
	global_load_b32 v89, v39, s[0:1] offset:1512
	global_load_b32 v95, v39, s[0:1] offset:1764
	global_load_b32 v152, v39, s[0:1] offset:504
	global_load_b32 v153, v39, s[0:1] offset:2016
	global_load_b32 v154, v39, s[0:1] offset:756
	global_load_b32 v155, v39, s[0:1] offset:2268
	global_load_b32 v156, v39, s[0:1] offset:1008
	global_load_b32 v157, v39, s[0:1] offset:2520
	global_load_b32 v158, v39, s[0:1] offset:1260
	global_load_b32 v159, v39, s[0:1] offset:2772
	ds_load_2addr_b32 v[142:143], v56 offset1:63
	s_wait_dscnt 0x0
	v_lshrrev_b32_e32 v39, 16, v142
	v_lshrrev_b32_e32 v150, 16, v143
	s_wait_loadcnt 0xa
	v_lshrrev_b32_e32 v151, 16, v47
	s_wait_loadcnt 0x9
	;; [unrolled: 2-line block ×4, first 2 shown]
	v_lshrrev_b32_e32 v162, 16, v152
	v_lshrrev_b32_e32 v40, 16, v37
	v_mul_f16_e64 v164, v143, v151
	s_wait_loadcnt 0x6
	v_lshrrev_b32_e32 v163, 16, v153
	s_wait_loadcnt 0x5
	v_lshrrev_b32_e32 v165, 16, v154
	;; [unrolled: 2-line block ×3, first 2 shown]
	v_mul_f16_e32 v45, v39, v40
	v_mul_f16_e64 v40, v142, v40
	v_fmac_f16_e64 v164, v150, v47
	s_wait_loadcnt 0x2
	v_lshrrev_b32_e32 v168, 16, v157
	s_wait_loadcnt 0x1
	v_lshrrev_b32_e32 v169, 16, v158
	v_fma_f16 v45, v142, v37, -v45
	v_fmac_f16_e32 v40, v39, v37
	v_add_nc_u32_e32 v37, 0x400, v56
	v_add_nc_u32_e32 v39, 0x600, v56
	s_wait_loadcnt 0x0
	v_lshrrev_b32_e32 v170, 16, v159
	v_pack_b32_f16 v142, v45, v40
	v_add_nc_u32_e32 v40, 0x200, v56
	v_add_nc_u32_e32 v45, 0x800, v56
	ds_store_b32 v56, v142
	v_mul_f16_e64 v142, v150, v151
	ds_load_2addr_b32 v[144:145], v37 offset0:122 offset1:185
	ds_load_2addr_b32 v[146:147], v56 offset0:126 offset1:189
	;; [unrolled: 1-line block ×4, first 2 shown]
	v_fma_f16 v167, v143, v47, -v142
	ds_load_2addr_b32 v[142:143], v40 offset0:124 offset1:187
	v_lshrrev_b32_e32 v47, 16, v156
	v_pack_b32_f16 v164, v167, v164
	s_wait_dscnt 0x4
	v_lshrrev_b32_e32 v167, 16, v144
	s_wait_dscnt 0x3
	v_lshrrev_b32_e32 v174, 16, v146
	v_lshrrev_b32_e32 v172, 16, v145
	s_wait_dscnt 0x2
	v_lshrrev_b32_e32 v176, 16, v148
	;; [unrolled: 3-line block ×3, first 2 shown]
	v_mul_f16_e64 v171, v144, v160
	v_lshrrev_b32_e32 v180, 16, v149
	v_lshrrev_b32_e32 v184, 16, v150
	v_lshrrev_b32_e32 v186, 16, v143
	v_lshrrev_b32_e32 v188, 16, v151
	v_mul_f16_e64 v175, v146, v162
	v_mul_f16_e64 v160, v167, v160
	;; [unrolled: 1-line block ×13, first 2 shown]
	v_fmac_f16_e64 v171, v167, v89
	v_mul_f16_e64 v166, v180, v166
	v_mul_f16_e64 v167, v184, v168
	;; [unrolled: 1-line block ×6, first 2 shown]
	v_fmac_f16_e64 v175, v174, v152
	v_fma_f16 v89, v144, v89, -v160
	v_fma_f16 v144, v146, v152, -v162
	v_fmac_f16_e64 v173, v172, v95
	v_fmac_f16_e64 v177, v176, v153
	v_fma_f16 v95, v145, v95, -v161
	v_fma_f16 v145, v148, v153, -v163
	v_fmac_f16_e64 v179, v178, v154
	;; [unrolled: 4-line block ×4, first 2 shown]
	v_fmac_f16_e64 v189, v188, v159
	v_fma_f16 v143, v143, v158, -v168
	v_fma_f16 v148, v151, v159, -v169
	v_pack_b32_f16 v144, v144, v175
	v_pack_b32_f16 v95, v95, v173
	;; [unrolled: 1-line block ×10, first 2 shown]
	ds_store_2addr_b32 v56, v164, v144 offset0:63 offset1:126
	ds_store_2addr_b32 v37, v95, v145 offset0:185 offset1:248
	;; [unrolled: 1-line block ×5, first 2 shown]
	ds_store_b32 v56, v148 offset:2772
	global_wb scope:SCOPE_SE
	s_wait_dscnt 0x0
	s_barrier_signal -1
	s_barrier_wait -1
	global_inv scope:SCOPE_SE
	ds_load_2addr_b32 v[142:143], v56 offset1:63
	ds_load_2addr_b32 v[144:145], v37 offset0:122 offset1:185
	ds_load_2addr_b32 v[146:147], v56 offset0:126 offset1:189
	;; [unrolled: 1-line block ×5, first 2 shown]
	global_wb scope:SCOPE_SE
	s_wait_dscnt 0x0
	s_barrier_signal -1
	s_barrier_wait -1
	global_inv scope:SCOPE_SE
	v_pk_add_f16 v154, v142, v144 neg_lo:[0,1] neg_hi:[0,1]
	v_pk_add_f16 v144, v143, v145 neg_lo:[0,1] neg_hi:[0,1]
	;; [unrolled: 1-line block ×6, first 2 shown]
	v_pk_fma_f16 v153, v142, 2.0, v154 op_sel_hi:[1,0,1] neg_lo:[0,0,1] neg_hi:[0,0,1]
	v_pk_fma_f16 v143, v143, 2.0, v144 op_sel_hi:[1,0,1] neg_lo:[0,0,1] neg_hi:[0,0,1]
	;; [unrolled: 1-line block ×6, first 2 shown]
	ds_store_b64 v81, v[153:154]
	ds_store_b64 v86, v[143:144]
	;; [unrolled: 1-line block ×6, first 2 shown]
	global_wb scope:SCOPE_SE
	s_wait_dscnt 0x0
	s_barrier_signal -1
	s_barrier_wait -1
	global_inv scope:SCOPE_SE
	ds_load_2addr_b32 v[85:86], v56 offset1:63
	ds_load_2addr_b32 v[140:141], v37 offset0:122 offset1:185
	ds_load_2addr_b32 v[142:143], v56 offset0:126 offset1:189
	;; [unrolled: 1-line block ×5, first 2 shown]
	global_wb scope:SCOPE_SE
	s_wait_dscnt 0x0
	s_barrier_signal -1
	s_barrier_wait -1
	global_inv scope:SCOPE_SE
	v_lshrrev_b32_e32 v47, 16, v85
	v_lshrrev_b32_e32 v81, 16, v140
	;; [unrolled: 1-line block ×4, first 2 shown]
	v_mul_f16_e64 v157, v96, v140
	v_lshrrev_b32_e32 v152, 16, v145
	v_lshrrev_b32_e32 v154, 16, v148
	;; [unrolled: 1-line block ×3, first 2 shown]
	v_mul_f16_e64 v163, v96, v81
	v_mul_f16_e64 v158, v97, v141
	v_mul_f16_e32 v97, v97, v89
	v_mul_f16_e64 v159, v96, v144
	v_fma_f16 v81, v78, v81, -v157
	v_mul_f16_e64 v157, v96, v150
	v_mul_f16_e64 v160, v80, v145
	;; [unrolled: 1-line block ×7, first 2 shown]
	v_fmac_f16_e64 v163, v78, v140
	v_lshrrev_b32_e32 v87, 16, v86
	v_fma_f16 v89, v84, v89, -v158
	v_fmac_f16_e64 v97, v84, v141
	v_lshrrev_b32_e32 v95, 16, v142
	v_fma_f16 v150, v78, v150, -v159
	;; [unrolled: 3-line block ×3, first 2 shown]
	v_fmac_f16_e64 v80, v82, v145
	v_lshrrev_b32_e32 v153, 16, v146
	v_lshrrev_b32_e32 v155, 16, v147
	v_fma_f16 v154, v78, v154, -v161
	v_fma_f16 v156, v79, v156, -v162
	v_fmac_f16_e64 v96, v78, v148
	v_fmac_f16_e64 v83, v79, v149
	v_sub_f16_e32 v78, v47, v81
	v_sub_f16_e64 v140, v85, v163
	v_sub_f16_e32 v79, v87, v89
	v_sub_f16_e32 v97, v86, v97
	v_sub_f16_e64 v81, v95, v150
	v_sub_f16_e64 v141, v142, v157
	;; [unrolled: 1-line block ×8, first 2 shown]
	v_fma_f16 v47, v47, 2.0, -v78
	v_fma_f16 v85, v85, 2.0, -v140
	;; [unrolled: 1-line block ×12, first 2 shown]
	v_pack_b32_f16 v78, v140, v78
	v_pack_b32_f16 v47, v85, v47
	;; [unrolled: 1-line block ×12, first 2 shown]
	ds_store_2addr_b32 v88, v47, v78 offset1:2
	ds_store_2addr_b32 v90, v84, v79 offset1:2
	ds_store_2addr_b32 v91, v85, v81 offset1:2
	ds_store_2addr_b32 v92, v86, v80 offset1:2
	ds_store_2addr_b32 v93, v87, v82 offset1:2
	ds_store_2addr_b32 v94, v89, v83 offset1:2
	global_wb scope:SCOPE_SE
	s_wait_dscnt 0x0
	s_barrier_signal -1
	s_barrier_wait -1
	global_inv scope:SCOPE_SE
	ds_load_2addr_b32 v[78:79], v56 offset1:63
	ds_load_2addr_b32 v[80:81], v40 offset0:124 offset1:187
	ds_load_2addr_b32 v[82:83], v39 offset0:120 offset1:183
	;; [unrolled: 1-line block ×5, first 2 shown]
	global_wb scope:SCOPE_SE
	s_wait_dscnt 0x0
	s_barrier_signal -1
	s_barrier_wait -1
	global_inv scope:SCOPE_SE
	v_lshrrev_b32_e32 v47, 16, v78
	v_lshrrev_b32_e32 v90, 16, v80
	;; [unrolled: 1-line block ×9, first 2 shown]
	v_mul_f16_e64 v143, v114, v80
	v_mul_f16_e64 v145, v112, v81
	v_mul_f16_e64 v144, v115, v82
	v_mul_f16_e64 v146, v113, v83
	v_mul_f16_e64 v149, v108, v87
	v_mul_f16_e64 v150, v109, v89
	v_mul_f16_e32 v114, v114, v90
	v_mul_f16_e32 v115, v115, v91
	;; [unrolled: 1-line block ×4, first 2 shown]
	v_lshrrev_b32_e32 v92, 16, v79
	v_mul_f16_e64 v147, v110, v86
	v_mul_f16_e64 v148, v111, v88
	v_fma_f16 v90, v15, v90, -v143
	v_fma_f16 v93, v13, v93, -v145
	v_mul_f16_e32 v110, v110, v96
	v_mul_f16_e32 v111, v111, v97
	v_mul_f16_e64 v108, v108, v141
	v_mul_f16_e64 v109, v109, v142
	v_fma_f16 v91, v16, v91, -v144
	v_fma_f16 v94, v14, v94, -v146
	;; [unrolled: 1-line block ×4, first 2 shown]
	v_fmac_f16_e32 v114, v15, v80
	v_fmac_f16_e32 v115, v16, v82
	;; [unrolled: 1-line block ×4, first 2 shown]
	v_fma_f16 v96, v11, v96, -v147
	v_fma_f16 v97, v12, v97, -v148
	v_fmac_f16_e32 v110, v11, v86
	v_fmac_f16_e32 v111, v12, v88
	;; [unrolled: 1-line block ×4, first 2 shown]
	v_add_f16_e32 v10, v47, v90
	v_add_f16_e32 v13, v92, v93
	v_lshrrev_b32_e32 v95, 16, v84
	v_lshrrev_b32_e32 v140, 16, v85
	v_add_f16_e32 v11, v90, v91
	v_add_f16_e32 v14, v93, v94
	v_add_f16_e64 v83, v141, v142
	v_add_f16_e32 v87, v114, v115
	v_add_f16_e32 v89, v112, v113
	v_sub_f16_e32 v9, v90, v91
	v_sub_f16_e32 v12, v93, v94
	v_add_f16_e32 v80, v96, v97
	v_add_f16_e32 v10, v10, v91
	;; [unrolled: 1-line block ×6, first 2 shown]
	v_add_f16_e64 v82, v140, v141
	v_add_f16_e32 v86, v78, v114
	v_fmac_f16_e32 v47, -0.5, v11
	v_sub_f16_e32 v11, v114, v115
	v_add_f16_e32 v88, v79, v112
	v_fmac_f16_e32 v92, -0.5, v14
	v_sub_f16_e32 v14, v112, v113
	v_add_f16_e32 v90, v84, v110
	v_fmac_f16_e64 v140, -0.5, v83
	v_sub_f16_e32 v83, v108, v109
	v_fma_f16 v78, -0.5, v87, v78
	v_fmac_f16_e32 v79, -0.5, v89
	v_sub_f16_e32 v15, v96, v97
	v_sub_f16_e64 v81, v141, v142
	v_fmac_f16_e32 v95, -0.5, v80
	v_sub_f16_e32 v80, v110, v111
	v_add_f16_e32 v93, v85, v108
	v_fma_f16 v84, -0.5, v91, v84
	v_fmac_f16_e32 v85, -0.5, v94
	v_add_f16_e32 v16, v16, v97
	v_add_f16_e32 v86, v86, v115
	v_fmamk_f16 v87, v11, 0x3aee, v47
	v_fmac_f16_e32 v47, 0xbaee, v11
	v_add_f16_e32 v11, v88, v113
	v_fmamk_f16 v88, v14, 0x3aee, v92
	v_fmac_f16_e32 v92, 0xbaee, v14
	v_add_f16_e32 v14, v90, v111
	v_fma_f16 v90, 0x3aee, v83, v140
	v_fmac_f16_e64 v140, 0xbaee, v83
	v_fmamk_f16 v83, v9, 0xbaee, v78
	v_fmac_f16_e32 v78, 0x3aee, v9
	v_fmamk_f16 v9, v12, 0xbaee, v79
	v_fmac_f16_e32 v79, 0x3aee, v12
	v_add_f16_e64 v82, v82, v142
	v_fmamk_f16 v89, v80, 0x3aee, v95
	v_fmac_f16_e32 v95, 0xbaee, v80
	v_add_f16_e32 v80, v93, v109
	v_fmamk_f16 v12, v15, 0xbaee, v84
	v_fmac_f16_e32 v84, 0x3aee, v15
	v_fmamk_f16 v15, v81, 0xbaee, v85
	v_fmac_f16_e32 v85, 0x3aee, v81
	v_pack_b32_f16 v10, v86, v10
	v_pack_b32_f16 v11, v11, v13
	;; [unrolled: 1-line block ×12, first 2 shown]
	ds_store_2addr_b32 v99, v10, v16 offset1:4
	ds_store_b32 v99, v47 offset:32
	ds_store_2addr_b32 v100, v11, v9 offset1:4
	ds_store_b32 v100, v78 offset:32
	;; [unrolled: 2-line block ×4, first 2 shown]
	global_wb scope:SCOPE_SE
	s_wait_dscnt 0x0
	s_barrier_signal -1
	s_barrier_wait -1
	global_inv scope:SCOPE_SE
	ds_load_2addr_b32 v[9:10], v56 offset1:63
	ds_load_2addr_b32 v[11:12], v40 offset0:124 offset1:187
	ds_load_2addr_b32 v[13:14], v39 offset0:120 offset1:183
	;; [unrolled: 1-line block ×5, first 2 shown]
	global_wb scope:SCOPE_SE
	s_wait_dscnt 0x0
	s_barrier_signal -1
	s_barrier_wait -1
	global_inv scope:SCOPE_SE
	v_lshrrev_b32_e32 v47, 16, v9
	v_lshrrev_b32_e32 v82, 16, v11
	v_lshrrev_b32_e32 v83, 16, v13
	v_mul_f16_e32 v93, v126, v11
	v_lshrrev_b32_e32 v85, 16, v12
	v_lshrrev_b32_e32 v86, 16, v14
	v_mul_f16_e32 v94, v127, v13
	v_mul_f16_e32 v95, v124, v12
	v_lshrrev_b32_e32 v88, 16, v78
	v_lshrrev_b32_e32 v89, 16, v80
	;; [unrolled: 1-line block ×4, first 2 shown]
	v_mul_f16_e32 v96, v125, v14
	v_mul_f16_e32 v97, v122, v78
	;; [unrolled: 1-line block ×6, first 2 shown]
	v_fma_f16 v82, v23, v82, -v93
	v_mul_f16_e32 v93, v127, v83
	v_fma_f16 v83, v24, v83, -v94
	v_mul_f16_e32 v94, v124, v85
	v_fma_f16 v85, v21, v85, -v95
	v_mul_f16_e32 v95, v125, v86
	v_lshrrev_b32_e32 v84, 16, v10
	v_fma_f16 v86, v22, v86, -v96
	v_mul_f16_e32 v96, v122, v88
	v_fma_f16 v88, v19, v88, -v97
	v_mul_f16_e32 v97, v123, v89
	v_fma_f16 v89, v20, v89, -v99
	v_mul_f16_e32 v99, v120, v91
	v_fma_f16 v91, v17, v91, -v100
	v_mul_f16_e32 v100, v121, v92
	v_fma_f16 v92, v18, v92, -v101
	v_fmac_f16_e32 v102, v23, v11
	v_fmac_f16_e32 v93, v24, v13
	;; [unrolled: 1-line block ×8, first 2 shown]
	v_add_f16_e32 v12, v47, v82
	v_add_f16_e32 v17, v84, v85
	v_lshrrev_b32_e32 v87, 16, v15
	v_lshrrev_b32_e32 v90, 16, v16
	v_add_f16_e32 v13, v82, v83
	v_add_f16_e32 v18, v85, v86
	v_add_f16_e32 v24, v91, v92
	v_add_f16_e32 v79, v102, v93
	v_add_f16_e32 v81, v94, v95
	v_sub_f16_e32 v11, v82, v83
	v_sub_f16_e32 v14, v85, v86
	v_add_f16_e32 v21, v88, v89
	v_add_f16_e32 v12, v12, v83
	v_add_f16_e32 v17, v17, v86
	v_add_f16_e32 v83, v96, v97
	v_add_f16_e32 v86, v99, v100
	v_add_f16_e32 v20, v87, v88
	v_add_f16_e32 v23, v90, v91
	v_add_f16_e32 v78, v9, v102
	v_fmac_f16_e32 v47, -0.5, v13
	v_sub_f16_e32 v13, v102, v93
	v_add_f16_e32 v80, v10, v94
	v_fmac_f16_e32 v84, -0.5, v18
	v_sub_f16_e32 v18, v94, v95
	v_add_f16_e32 v82, v15, v96
	v_fmac_f16_e32 v90, -0.5, v24
	v_sub_f16_e32 v24, v99, v100
	v_fma_f16 v9, -0.5, v79, v9
	v_fmac_f16_e32 v10, -0.5, v81
	v_sub_f16_e32 v19, v88, v89
	v_sub_f16_e32 v22, v91, v92
	v_fmac_f16_e32 v87, -0.5, v21
	v_sub_f16_e32 v21, v96, v97
	v_add_f16_e32 v85, v16, v99
	v_fma_f16 v15, -0.5, v83, v15
	v_fmac_f16_e32 v16, -0.5, v86
	v_add_f16_e32 v20, v20, v89
	v_add_f16_e32 v78, v78, v93
	v_fmamk_f16 v79, v13, 0x3aee, v47
	v_fmac_f16_e32 v47, 0xbaee, v13
	v_add_f16_e32 v13, v80, v95
	v_fmamk_f16 v80, v18, 0x3aee, v84
	v_fmac_f16_e32 v84, 0xbaee, v18
	;; [unrolled: 3-line block ×3, first 2 shown]
	v_fmamk_f16 v24, v11, 0xbaee, v9
	v_fmac_f16_e32 v9, 0x3aee, v11
	v_fmamk_f16 v11, v14, 0xbaee, v10
	v_fmac_f16_e32 v10, 0x3aee, v14
	v_add_f16_e32 v23, v23, v92
	v_fmamk_f16 v81, v21, 0x3aee, v87
	v_fmac_f16_e32 v87, 0xbaee, v21
	v_add_f16_e32 v21, v85, v100
	v_fmamk_f16 v14, v19, 0xbaee, v15
	v_fmac_f16_e32 v15, 0x3aee, v19
	v_fmamk_f16 v19, v22, 0xbaee, v16
	v_fmac_f16_e32 v16, 0x3aee, v22
	v_pack_b32_f16 v12, v78, v12
	v_pack_b32_f16 v13, v13, v17
	;; [unrolled: 1-line block ×12, first 2 shown]
	ds_store_2addr_b32 v103, v12, v20 offset1:12
	ds_store_b32 v103, v9 offset:96
	ds_store_2addr_b32 v105, v13, v11 offset1:12
	ds_store_b32 v105, v10 offset:96
	ds_store_2addr_b32 v106, v17, v14 offset1:12
	ds_store_b32 v106, v15 offset:96
	ds_store_2addr_b32 v104, v18, v19 offset1:12
	ds_store_b32 v104, v16 offset:96
	global_wb scope:SCOPE_SE
	s_wait_dscnt 0x0
	s_barrier_signal -1
	s_barrier_wait -1
	global_inv scope:SCOPE_SE
	ds_load_2addr_b32 v[14:15], v56 offset1:63
	ds_load_2addr_b32 v[11:12], v40 offset0:124 offset1:187
	ds_load_2addr_b32 v[16:17], v39 offset0:120 offset1:183
	;; [unrolled: 1-line block ×5, first 2 shown]
	global_wb scope:SCOPE_SE
	s_wait_dscnt 0x0
	s_barrier_signal -1
	s_barrier_wait -1
	global_inv scope:SCOPE_SE
	v_lshrrev_b32_e32 v20, 16, v14
	v_lshrrev_b32_e32 v13, 16, v11
	;; [unrolled: 1-line block ×3, first 2 shown]
	v_mul_f16_e64 v84, v134, v11
	v_lshrrev_b32_e32 v78, 16, v12
	v_lshrrev_b32_e32 v79, 16, v17
	v_mul_f16_e64 v85, v135, v16
	v_mul_f16_e64 v86, v132, v12
	v_lshrrev_b32_e32 v80, 16, v18
	v_lshrrev_b32_e32 v81, 16, v23
	v_mul_f16_e64 v87, v133, v17
	v_mul_f16_e64 v88, v131, v18
	;; [unrolled: 1-line block ×3, first 2 shown]
	v_fma_f16 v13, v31, v13, -v84
	v_mul_f16_e64 v84, v135, v45
	v_lshrrev_b32_e32 v82, 16, v19
	v_lshrrev_b32_e32 v83, 16, v24
	v_mul_f16_e64 v89, v130, v23
	v_mul_f16_e64 v90, v129, v19
	v_fma_f16 v45, v32, v45, -v85
	v_mul_f16_e64 v85, v132, v78
	v_fma_f16 v78, v29, v78, -v86
	;; [unrolled: 2-line block ×4, first 2 shown]
	v_mul_f16_e64 v88, v130, v81
	v_fmac_f16_e32 v92, v31, v11
	v_fmac_f16_e32 v84, v32, v16
	v_lshrrev_b32_e32 v47, 16, v15
	v_mul_f16_e64 v91, v128, v24
	v_fma_f16 v81, v28, v81, -v89
	v_mul_f16_e64 v89, v129, v82
	v_fma_f16 v82, v25, v82, -v90
	v_mul_f16_e64 v90, v128, v83
	v_fmac_f16_e32 v85, v29, v12
	v_fmac_f16_e32 v86, v30, v17
	v_lshrrev_b32_e32 v22, 16, v9
	v_fmac_f16_e32 v87, v27, v18
	v_fmac_f16_e32 v88, v28, v23
	v_sub_f16_e32 v11, v13, v45
	v_add_f16_e32 v12, v20, v13
	v_add_f16_e32 v13, v13, v45
	;; [unrolled: 1-line block ×4, first 2 shown]
	v_fma_f16 v83, v26, v83, -v91
	v_fmac_f16_e32 v89, v25, v19
	v_fmac_f16_e32 v90, v26, v24
	v_add_f16_e32 v17, v47, v78
	v_add_f16_e32 v31, v85, v86
	;; [unrolled: 1-line block ×6, first 2 shown]
	v_fmac_f16_e32 v20, -0.5, v13
	v_sub_f16_e32 v12, v92, v84
	v_fmac_f16_e32 v47, -0.5, v18
	v_sub_f16_e32 v18, v85, v86
	v_add_f16_e32 v32, v9, v87
	v_add_f16_e32 v45, v87, v88
	v_fma_f16 v29, -0.5, v29, v14
	v_lshrrev_b32_e32 v21, 16, v10
	v_sub_f16_e32 v16, v78, v79
	v_add_f16_e32 v27, v82, v83
	v_add_f16_e32 v13, v15, v85
	;; [unrolled: 1-line block ×4, first 2 shown]
	v_fmac_f16_e32 v15, -0.5, v31
	v_sub_f16_e32 v19, v80, v81
	v_add_f16_e32 v78, v23, v81
	v_fmac_f16_e32 v22, -0.5, v24
	v_sub_f16_e32 v23, v87, v88
	v_add_f16_e32 v28, v28, v84
	v_fmamk_f16 v80, v12, 0x3aee, v20
	v_fmac_f16_e32 v20, 0xbaee, v12
	v_fmamk_f16 v31, v18, 0x3aee, v47
	v_fmac_f16_e32 v47, 0xbaee, v18
	v_add_f16_e32 v18, v32, v88
	v_fma_f16 v12, -0.5, v45, v9
	v_fmamk_f16 v32, v11, 0xbaee, v29
	v_fmac_f16_e32 v29, 0x3aee, v11
	v_sub_f16_e32 v25, v82, v83
	v_add_f16_e32 v26, v21, v82
	v_add_f16_e32 v24, v10, v89
	v_fmac_f16_e32 v21, -0.5, v27
	v_sub_f16_e32 v27, v89, v90
	v_add_f16_e32 v81, v13, v86
	v_fmac_f16_e32 v10, -0.5, v79
	v_fmamk_f16 v45, v16, 0xbaee, v15
	v_fmac_f16_e32 v15, 0x3aee, v16
	v_fmamk_f16 v9, v23, 0x3aee, v22
	v_fmamk_f16 v11, v19, 0xbaee, v12
	v_fmac_f16_e32 v12, 0x3aee, v19
	v_pack_b32_f16 v16, v28, v30
	v_pack_b32_f16 v19, v32, v80
	v_fmac_f16_e32 v22, 0xbaee, v23
	v_pack_b32_f16 v20, v29, v20
	v_add_f16_e32 v13, v24, v90
	v_fmamk_f16 v14, v25, 0xbaee, v10
	v_fmac_f16_e32 v10, 0x3aee, v25
	v_add_f16_e32 v24, v26, v83
	v_fmamk_f16 v23, v27, 0x3aee, v21
	v_pack_b32_f16 v17, v81, v17
	v_pack_b32_f16 v25, v45, v31
	v_fmac_f16_e32 v21, 0xbaee, v27
	v_pack_b32_f16 v15, v15, v47
	ds_store_2addr_b32 v119, v16, v19 offset1:36
	ds_store_b32 v119, v20 offset:288
	ds_store_2addr_b32 v118, v17, v25 offset1:36
	v_pack_b32_f16 v16, v18, v78
	v_pack_b32_f16 v17, v11, v9
	;; [unrolled: 1-line block ×6, first 2 shown]
	ds_store_b32 v118, v15 offset:288
	ds_store_2addr_b32 v117, v16, v17 offset1:36
	ds_store_b32 v117, v18 offset:288
	ds_store_2addr_b32 v116, v19, v20 offset1:36
	ds_store_b32 v116, v25 offset:288
	global_wb scope:SCOPE_SE
	s_wait_dscnt 0x0
	s_barrier_signal -1
	s_barrier_wait -1
	global_inv scope:SCOPE_SE
	ds_load_2addr_b32 v[15:16], v56 offset1:108
	ds_load_2addr_b32 v[19:20], v40 offset0:88 offset1:196
	ds_load_2addr_b32 v[17:18], v39 offset0:48 offset1:156
	ds_load_b32 v25, v56 offset:2592
	s_and_saveexec_b32 s0, vcc_lo
	s_cbranch_execz .LBB0_7
; %bb.6:
	ds_load_2addr_b32 v[11:12], v56 offset0:63 offset1:171
	ds_load_2addr_b32 v[13:14], v37 offset0:23 offset1:131
	;; [unrolled: 1-line block ×3, first 2 shown]
	ds_load_b32 v42, v56 offset:2844
	s_wait_dscnt 0x3
	v_lshrrev_b32_e32 v9, 16, v11
	v_lshrrev_b32_e32 v22, 16, v12
	s_wait_dscnt 0x2
	v_lshrrev_b32_e32 v24, 16, v13
	v_lshrrev_b32_e32 v23, 16, v14
	;; [unrolled: 3-line block ×3, first 2 shown]
	s_wait_dscnt 0x0
	v_lshrrev_b32_e32 v44, 16, v42
	v_mov_b32_e32 v10, v37
.LBB0_7:
	s_wait_alu 0xfffe
	s_or_b32 exec_lo, exec_lo, s0
	s_wait_dscnt 0x3
	v_lshrrev_b32_e32 v26, 16, v16
	s_wait_dscnt 0x2
	v_lshrrev_b32_e32 v28, 16, v19
	v_lshrrev_b32_e32 v29, 16, v20
	v_mul_f16_e64 v30, v139, v16
	s_wait_dscnt 0x1
	v_lshrrev_b32_e32 v32, 16, v17
	v_mul_f16_e64 v31, v139, v26
	v_lshrrev_b32_e32 v37, 16, v18
	s_wait_dscnt 0x0
	v_lshrrev_b32_e32 v45, 16, v25
	v_fma_f16 v26, v4, v26, -v30
	v_mul_f16_e64 v30, v137, v29
	v_fmac_f16_e32 v31, v4, v16
	v_mul_f16_e64 v4, v138, v28
	v_mul_f16_e64 v16, v138, v19
	v_mul_f16_e32 v78, v107, v32
	v_mul_f16_e64 v47, v137, v20
	v_fmac_f16_e32 v30, v6, v20
	v_fmac_f16_e32 v4, v5, v19
	v_fma_f16 v5, v5, v28, -v16
	v_fmac_f16_e32 v78, v7, v17
	v_mul_f16_e64 v16, v136, v45
	v_mul_f16_e64 v19, v136, v25
	v_mul_f16_e32 v17, v107, v17
	v_mul_f16_e32 v20, v98, v37
	;; [unrolled: 1-line block ×3, first 2 shown]
	v_fmac_f16_e32 v16, v36, v25
	v_fma_f16 v19, v36, v45, -v19
	v_fma_f16 v7, v7, v32, -v17
	v_fmac_f16_e32 v20, v35, v18
	v_fma_f16 v17, v35, v37, -v28
	v_fma_f16 v6, v6, v29, -v47
	v_add_f16_e32 v18, v31, v16
	v_add_f16_e32 v25, v26, v19
	v_sub_f16_e32 v19, v26, v19
	v_add_f16_e32 v26, v4, v20
	v_add_f16_e32 v28, v5, v17
	v_sub_f16_e32 v4, v4, v20
	v_sub_f16_e32 v5, v5, v17
	v_add_f16_e32 v17, v30, v78
	v_add_f16_e32 v20, v6, v7
	v_sub_f16_e32 v29, v78, v30
	;; [unrolled: 4-line block ×3, first 2 shown]
	v_lshrrev_b32_e32 v27, 16, v15
	v_sub_f16_e32 v31, v26, v18
	v_sub_f16_e32 v32, v28, v25
	;; [unrolled: 1-line block ×6, first 2 shown]
	v_add_f16_e32 v35, v29, v4
	v_add_f16_e32 v36, v6, v5
	v_sub_f16_e32 v37, v29, v4
	v_sub_f16_e32 v45, v6, v5
	v_add_f16_e32 v7, v17, v7
	v_add_f16_e32 v17, v20, v30
	v_sub_f16_e32 v4, v4, v16
	v_sub_f16_e32 v5, v5, v19
	;; [unrolled: 1-line block ×4, first 2 shown]
	v_add_f16_e32 v16, v35, v16
	v_add_f16_e32 v19, v36, v19
	;; [unrolled: 1-line block ×4, first 2 shown]
	v_mul_f16_e32 v18, 0x3a52, v18
	v_mul_f16_e32 v25, 0x3a52, v25
	;; [unrolled: 1-line block ×8, first 2 shown]
	v_fmamk_f16 v7, v7, 0xbcab, v15
	v_fmamk_f16 v17, v17, 0xbcab, v20
	;; [unrolled: 1-line block ×4, first 2 shown]
	v_fma_f16 v27, v31, 0x39e0, -v27
	v_fma_f16 v30, v32, 0x39e0, -v30
	;; [unrolled: 1-line block ×4, first 2 shown]
	v_fmamk_f16 v31, v29, 0xb574, v35
	v_fmamk_f16 v32, v6, 0xb574, v36
	v_fma_f16 v4, v4, 0xbb00, -v35
	v_fma_f16 v5, v5, 0xbb00, -v36
	;; [unrolled: 1-line block ×4, first 2 shown]
	v_add_f16_e32 v26, v26, v7
	v_add_f16_e32 v28, v28, v17
	v_fmac_f16_e32 v31, 0xb70e, v16
	v_fmac_f16_e32 v32, 0xb70e, v19
	v_add_f16_e32 v27, v27, v7
	v_add_f16_e32 v30, v30, v17
	;; [unrolled: 1-line block ×4, first 2 shown]
	v_fmac_f16_e32 v4, 0xb70e, v16
	v_fmac_f16_e32 v6, 0xb70e, v19
	;; [unrolled: 1-line block ×4, first 2 shown]
	v_add_f16_e32 v16, v32, v26
	v_sub_f16_e32 v18, v28, v31
	v_add_f16_e32 v19, v6, v7
	v_sub_f16_e32 v25, v17, v29
	v_sub_f16_e32 v35, v27, v5
	v_add_f16_e32 v36, v4, v30
	v_add_f16_e32 v5, v5, v27
	v_sub_f16_e32 v4, v30, v4
	v_sub_f16_e32 v6, v7, v6
	v_add_f16_e32 v7, v29, v17
	v_sub_f16_e32 v17, v26, v32
	v_add_f16_e32 v26, v31, v28
	v_pack_b32_f16 v15, v15, v20
	v_pack_b32_f16 v16, v16, v18
	;; [unrolled: 1-line block ×7, first 2 shown]
	ds_store_2addr_b32 v56, v15, v16 offset1:108
	ds_store_2addr_b32 v40, v18, v19 offset0:88 offset1:196
	ds_store_2addr_b32 v39, v4, v5 offset0:48 offset1:156
	ds_store_b32 v56, v6 offset:2592
	s_and_saveexec_b32 s0, vcc_lo
	s_cbranch_execz .LBB0_9
; %bb.8:
	v_mul_f16_e32 v6, v50, v22
	v_mul_f16_e32 v4, v46, v21
	;; [unrolled: 1-line block ×5, first 2 shown]
	v_fmac_f16_e32 v6, v0, v12
	v_mul_f16_e32 v12, v50, v12
	v_fmac_f16_e32 v4, v3, v10
	v_fmac_f16_e32 v15, v1, v13
	v_mul_f16_e32 v19, v49, v38
	v_mul_f16_e32 v13, v48, v13
	v_fma_f16 v0, v0, v22, -v12
	v_mul_f16_e32 v12, v43, v14
	v_mul_f16_e32 v10, v46, v10
	v_fmac_f16_e32 v5, v2, v14
	v_fma_f16 v16, v34, v44, -v16
	v_fma_f16 v14, v33, v41, -v19
	;; [unrolled: 1-line block ×5, first 2 shown]
	v_mul_f16_e32 v7, v51, v44
	v_mul_f16_e32 v18, v49, v41
	v_add_f16_e32 v10, v16, v0
	v_add_f16_e32 v12, v14, v1
	;; [unrolled: 1-line block ×3, first 2 shown]
	v_fmac_f16_e32 v7, v34, v42
	v_fmac_f16_e32 v18, v33, v38
	v_sub_f16_e32 v17, v4, v5
	v_add_f16_e32 v21, v12, v10
	v_sub_f16_e32 v23, v10, v19
	v_sub_f16_e32 v20, v6, v7
	v_add_f16_e32 v6, v7, v6
	v_add_f16_e32 v7, v18, v15
	;; [unrolled: 1-line block ×3, first 2 shown]
	v_mul_f16_e32 v23, 0x3a52, v23
	v_sub_f16_e32 v19, v19, v12
	v_add_f16_e32 v4, v4, v5
	v_sub_f16_e32 v2, v3, v2
	v_sub_f16_e32 v1, v1, v14
	;; [unrolled: 1-line block ×4, first 2 shown]
	v_add_f16_e32 v18, v7, v6
	v_fmamk_f16 v26, v19, 0x2b26, v23
	v_mul_f16_e32 v15, 0x2b26, v19
	v_sub_f16_e32 v3, v6, v4
	v_sub_f16_e32 v16, v2, v1
	;; [unrolled: 1-line block ×3, first 2 shown]
	v_add_f16_e32 v2, v2, v1
	v_sub_f16_e32 v22, v17, v13
	v_add_f16_e32 v9, v9, v21
	v_add_f16_e32 v18, v4, v18
	v_sub_f16_e32 v24, v20, v17
	v_add_f16_e32 v17, v17, v13
	v_mul_f16_e32 v3, 0x3a52, v3
	v_sub_f16_e32 v4, v4, v7
	v_sub_f16_e32 v13, v13, v20
	v_add_f16_e32 v2, v2, v0
	v_sub_f16_e32 v0, v1, v0
	v_mul_f16_e32 v22, 0x3846, v22
	v_fmamk_f16 v21, v21, 0xbcab, v9
	v_add_f16_e32 v11, v11, v18
	v_mul_f16_e32 v16, 0x3846, v16
	v_sub_f16_e32 v10, v12, v10
	v_add_f16_e32 v17, v17, v20
	v_fmamk_f16 v20, v4, 0x2b26, v3
	v_mul_f16_e32 v27, 0xbb00, v13
	v_mul_f16_e32 v4, 0x2b26, v4
	v_sub_f16_e32 v6, v7, v6
	v_mul_f16_e32 v7, 0xbb00, v0
	v_fmamk_f16 v25, v24, 0xb574, v22
	v_add_f16_e32 v5, v26, v21
	v_fmamk_f16 v18, v18, 0xbcab, v11
	v_fmamk_f16 v26, v19, 0xb574, v16
	v_fma_f16 v23, v10, 0xb9e0, -v23
	v_fma_f16 v10, v10, 0x39e0, -v15
	;; [unrolled: 1-line block ×8, first 2 shown]
	v_fmac_f16_e32 v25, 0xb70e, v17
	v_add_f16_e32 v20, v20, v18
	v_fmac_f16_e32 v26, 0xb70e, v2
	v_add_f16_e32 v10, v10, v21
	v_fmac_f16_e32 v13, 0xb70e, v17
	v_fmac_f16_e32 v1, 0xb70e, v17
	v_add_f16_e32 v15, v23, v21
	v_add_f16_e32 v3, v3, v18
	v_fmac_f16_e32 v7, 0xb70e, v2
	v_fmac_f16_e32 v0, 0xb70e, v2
	v_add_f16_e32 v2, v4, v18
	v_add_f16_e32 v14, v25, v5
	v_sub_f16_e32 v17, v10, v13
	v_add_f16_e32 v4, v13, v10
	v_sub_f16_e32 v5, v5, v25
	v_add_f16_e32 v10, v26, v20
	v_add_f16_e32 v6, v1, v15
	v_sub_f16_e32 v16, v3, v7
	v_sub_f16_e32 v1, v15, v1
	v_add_f16_e32 v3, v7, v3
	v_sub_f16_e32 v7, v2, v0
	v_add_f16_e32 v0, v0, v2
	v_sub_f16_e32 v12, v20, v26
	v_pack_b32_f16 v2, v11, v9
	v_pack_b32_f16 v5, v10, v5
	;; [unrolled: 1-line block ×4, first 2 shown]
	v_add_nc_u32_e32 v4, 0x400, v56
	v_pack_b32_f16 v0, v0, v17
	v_pack_b32_f16 v6, v16, v6
	v_add_nc_u32_e32 v7, 0x600, v56
	v_pack_b32_f16 v9, v12, v14
	ds_store_2addr_b32 v56, v2, v5 offset0:63 offset1:171
	ds_store_2addr_b32 v4, v1, v3 offset0:23 offset1:131
	;; [unrolled: 1-line block ×3, first 2 shown]
	ds_store_b32 v56, v9 offset:2844
.LBB0_9:
	s_wait_alu 0xfffe
	s_or_b32 exec_lo, exec_lo, s0
	global_wb scope:SCOPE_SE
	s_wait_dscnt 0x0
	s_barrier_signal -1
	s_barrier_wait -1
	global_inv scope:SCOPE_SE
	ds_load_2addr_b32 v[0:1], v56 offset1:63
	v_add_nc_u32_e32 v2, 0x400, v56
	s_mov_b32 s8, 0x6b015ac0
	s_mov_b32 s9, 0x3f55ac05
	v_mad_co_u64_u32 v[15:16], null, s4, v70, 0
	ds_load_2addr_b32 v[2:3], v2 offset0:122 offset1:185
	s_wait_dscnt 0x1
	v_lshrrev_b32_e32 v4, 16, v0
	v_mul_f16_e32 v5, v77, v0
	v_lshrrev_b32_e32 v13, 16, v1
	s_delay_alu instid0(VALU_DEP_3) | instskip(NEXT) | instid1(VALU_DEP_3)
	v_mul_f16_e32 v6, v77, v4
	v_fma_f16 v4, v73, v4, -v5
	s_wait_dscnt 0x0
	v_lshrrev_b32_e32 v9, 16, v2
	v_mul_f16_e32 v7, v76, v2
	v_mul_f16_e32 v10, v75, v13
	v_fmac_f16_e32 v6, v73, v0
	v_cvt_f32_f16_e32 v0, v4
	v_mul_f16_e32 v14, v76, v9
	s_delay_alu instid0(VALU_DEP_4) | instskip(NEXT) | instid1(VALU_DEP_4)
	v_fmac_f16_e32 v10, v72, v1
	v_cvt_f32_f16_e32 v6, v6
	s_delay_alu instid0(VALU_DEP_4)
	v_cvt_f64_f32_e32 v[4:5], v0
	v_fma_f16 v0, v74, v9, -v7
	v_fmac_f16_e32 v14, v74, v2
	v_cvt_f32_f16_e32 v11, v10
	v_cvt_f64_f32_e32 v[6:7], v6
	v_mul_f16_e32 v2, v75, v1
	v_cvt_f32_f16_e32 v0, v0
	s_delay_alu instid0(VALU_DEP_4) | instskip(NEXT) | instid1(VALU_DEP_3)
	v_cvt_f64_f32_e32 v[11:12], v11
	v_fma_f16 v2, v72, v13, -v2
	s_delay_alu instid0(VALU_DEP_3) | instskip(SKIP_2) | instid1(VALU_DEP_4)
	v_cvt_f64_f32_e32 v[9:10], v0
	v_cvt_f32_f16_e32 v0, v14
	v_mad_co_u64_u32 v[13:14], null, s6, v8, 0
	v_cvt_f32_f16_e32 v2, v2
	s_delay_alu instid0(VALU_DEP_3) | instskip(NEXT) | instid1(VALU_DEP_2)
	v_cvt_f64_f32_e32 v[0:1], v0
	v_cvt_f64_f32_e32 v[17:18], v2
	s_delay_alu instid0(VALU_DEP_4) | instskip(SKIP_1) | instid1(VALU_DEP_2)
	v_mov_b32_e32 v2, v14
	v_mov_b32_e32 v14, v16
	v_mad_co_u64_u32 v[19:20], null, s7, v8, v[2:3]
	s_delay_alu instid0(VALU_DEP_2) | instskip(SKIP_3) | instid1(VALU_DEP_3)
	v_mad_co_u64_u32 v[20:21], null, s5, v70, v[14:15]
	v_lshrrev_b32_e32 v2, 16, v3
	s_movk_i32 s6, 0xfb14
	s_mov_b32 s7, -1
	v_mov_b32_e32 v14, v19
	s_delay_alu instid0(VALU_DEP_2) | instskip(NEXT) | instid1(VALU_DEP_4)
	v_mul_f16_e32 v19, v71, v2
	v_mov_b32_e32 v16, v20
	s_wait_alu 0xfffe
	v_mul_f64_e32 v[4:5], s[8:9], v[4:5]
	s_delay_alu instid0(VALU_DEP_3) | instskip(SKIP_2) | instid1(VALU_DEP_2)
	v_fmac_f16_e32 v19, v69, v3
	v_mul_f16_e32 v3, v71, v3
	v_mul_f64_e32 v[6:7], s[8:9], v[6:7]
	v_fma_f16 v2, v69, v2, -v3
	v_mul_f64_e32 v[8:9], s[8:9], v[9:10]
	v_mul_f64_e32 v[10:11], s[8:9], v[11:12]
	v_lshlrev_b64_e32 v[12:13], 2, v[13:14]
	v_lshlrev_b64_e32 v[14:15], 2, v[15:16]
	v_cvt_f32_f16_e32 v16, v19
	v_mul_f64_e32 v[0:1], s[8:9], v[0:1]
	s_delay_alu instid0(VALU_DEP_4) | instskip(SKIP_2) | instid1(VALU_DEP_2)
	v_add_co_u32 v12, vcc_lo, s2, v12
	s_wait_alu 0xfffd
	v_add_co_ci_u32_e32 v13, vcc_lo, s3, v13, vcc_lo
	v_add_co_u32 v12, vcc_lo, v12, v14
	s_wait_alu 0xfffd
	s_delay_alu instid0(VALU_DEP_2)
	v_add_co_ci_u32_e32 v13, vcc_lo, v13, v15, vcc_lo
	v_cvt_f64_f32_e32 v[14:15], v16
	v_mul_f64_e32 v[16:17], s[8:9], v[17:18]
	v_and_or_b32 v4, 0x1ff, v5, v4
	v_lshrrev_b32_e32 v18, 8, v5
	v_bfe_u32 v19, v5, 20, 11
	v_lshrrev_b32_e32 v5, 16, v5
	v_and_or_b32 v6, 0x1ff, v7, v6
	v_cmp_ne_u32_e32 vcc_lo, 0, v4
	v_bfe_u32 v21, v7, 20, 11
	v_lshrrev_b32_e32 v20, 8, v7
	v_sub_nc_u32_e32 v22, 0x3f1, v19
	v_add_nc_u32_e32 v19, 0xfffffc10, v19
	s_wait_alu 0xfffd
	v_cndmask_b32_e64 v4, 0, 1, vcc_lo
	v_and_or_b32 v8, 0x1ff, v9, v8
	v_cmp_ne_u32_e32 vcc_lo, 0, v6
	v_sub_nc_u32_e32 v27, 0x3f1, v21
	v_bfe_u32 v24, v9, 20, 11
	v_and_or_b32 v4, 0xffe, v18, v4
	v_lshrrev_b32_e32 v23, 8, v9
	s_wait_alu 0xfffd
	v_cndmask_b32_e64 v6, 0, 1, vcc_lo
	v_cmp_ne_u32_e32 vcc_lo, 0, v8
	v_and_or_b32 v0, 0x1ff, v1, v0
	v_lshl_or_b32 v30, v19, 12, v4
	v_med3_i32 v18, v22, 0, 13
	v_and_or_b32 v6, 0xffe, v20, v6
	s_wait_alu 0xfffd
	v_cndmask_b32_e64 v8, 0, 1, vcc_lo
	v_cmp_ne_u32_e32 vcc_lo, 0, v4
	v_med3_i32 v20, v27, 0, 13
	v_or_b32_e32 v27, 0x1000, v4
	v_lshrrev_b32_e32 v22, 8, v1
	v_bfe_u32 v28, v1, 20, 11
	s_wait_alu 0xfffd
	v_cndmask_b32_e64 v4, 0, 1, vcc_lo
	v_cmp_ne_u32_e32 vcc_lo, 0, v0
	v_sub_nc_u32_e32 v29, 0x3f1, v24
	v_add_nc_u32_e32 v21, 0xfffffc10, v21
	v_sub_nc_u32_e32 v31, 0x3f1, v28
	v_and_or_b32 v8, 0xffe, v23, v8
	s_wait_alu 0xfffd
	v_cndmask_b32_e64 v0, 0, 1, vcc_lo
	v_med3_i32 v23, v29, 0, 13
	v_or_b32_e32 v29, 0x1000, v6
	v_cmp_ne_u32_e32 vcc_lo, 0, v6
	v_lshrrev_b32_e32 v33, v18, v27
	v_and_or_b32 v0, 0xffe, v22, v0
	v_add_nc_u32_e32 v28, 0xfffffc10, v28
	v_lshl_or_b32 v32, v21, 12, v6
	s_wait_alu 0xfffd
	v_cndmask_b32_e64 v6, 0, 1, vcc_lo
	v_med3_i32 v22, v31, 0, 13
	v_or_b32_e32 v31, 0x1000, v8
	v_lshrrev_b32_e32 v35, v20, v29
	v_lshlrev_b32_e32 v18, v18, v33
	v_cmp_ne_u32_e32 vcc_lo, 0, v0
	v_or_b32_e32 v36, 0x1000, v0
	v_lshl_or_b32 v37, v28, 12, v0
	v_lshlrev_b32_e32 v20, v20, v35
	v_lshrrev_b32_e32 v38, v23, v31
	s_wait_alu 0xfffd
	v_cndmask_b32_e64 v0, 0, 1, vcc_lo
	v_cmp_ne_u32_e32 vcc_lo, v18, v27
	v_lshrrev_b32_e32 v27, v22, v36
	v_cmp_gt_i32_e64 s3, 1, v28
	v_lshlrev_b32_e32 v23, v23, v38
	v_lshl_or_b32 v6, v6, 9, 0x7c00
	s_wait_alu 0xfffd
	v_cndmask_b32_e64 v18, 0, 1, vcc_lo
	v_cmp_ne_u32_e32 vcc_lo, v20, v29
	v_lshlrev_b32_e32 v22, v22, v27
	v_lshl_or_b32 v4, v4, 9, 0x7c00
	v_add_nc_u32_e32 v24, 0xfffffc10, v24
	v_or_b32_e32 v18, v33, v18
	s_wait_alu 0xfffd
	v_cndmask_b32_e64 v20, 0, 1, vcc_lo
	v_cmp_ne_u32_e32 vcc_lo, v23, v31
	v_lshrrev_b32_e32 v7, 16, v7
	v_lshl_or_b32 v34, v24, 12, v8
	v_and_or_b32 v10, 0x1ff, v11, v10
	v_or_b32_e32 v20, v35, v20
	s_wait_alu 0xfffd
	v_cndmask_b32_e64 v23, 0, 1, vcc_lo
	v_cmp_gt_i32_e32 vcc_lo, 1, v21
	v_lshl_or_b32 v0, v0, 9, 0x7c00
	v_bfe_u32 v26, v11, 20, 11
	v_lshrrev_b32_e32 v1, 16, v1
	v_or_b32_e32 v23, v38, v23
	s_wait_alu 0xfffd
	v_cndmask_b32_e32 v20, v32, v20, vcc_lo
	v_cmp_gt_i32_e32 vcc_lo, 1, v19
	v_lshrrev_b32_e32 v25, 8, v11
	v_lshrrev_b32_e32 v9, 16, v9
	;; [unrolled: 1-line block ×3, first 2 shown]
	s_wait_alu 0xfffd
	v_cndmask_b32_e32 v18, v30, v18, vcc_lo
	v_cmp_ne_u32_e32 vcc_lo, v22, v36
	s_delay_alu instid0(VALU_DEP_2) | instskip(SKIP_3) | instid1(VALU_DEP_3)
	v_and_b32_e32 v30, 7, v18
	s_wait_alu 0xfffd
	v_cndmask_b32_e64 v22, 0, 1, vcc_lo
	v_lshrrev_b32_e32 v18, 2, v18
	v_cmp_lt_i32_e64 s1, 5, v30
	s_delay_alu instid0(VALU_DEP_3) | instskip(SKIP_2) | instid1(VALU_DEP_2)
	v_or_b32_e32 v22, v27, v22
	v_cmp_eq_u32_e64 s2, 3, v30
	s_wait_alu 0xf1ff
	v_cndmask_b32_e64 v22, v37, v22, s3
	s_delay_alu instid0(VALU_DEP_1) | instskip(SKIP_3) | instid1(VALU_DEP_3)
	v_and_b32_e32 v27, 7, v22
	v_and_b32_e32 v29, 7, v20
	v_lshrrev_b32_e32 v20, 2, v20
	v_lshrrev_b32_e32 v22, 2, v22
	v_cmp_lt_i32_e32 vcc_lo, 5, v29
	v_cmp_eq_u32_e64 s0, 3, v29
	s_delay_alu instid0(VALU_DEP_1)
	s_or_b32 vcc_lo, s0, vcc_lo
	v_cmp_eq_u32_e64 s0, 3, v27
	s_wait_alu 0xfffe
	v_add_co_ci_u32_e32 v20, vcc_lo, 0, v20, vcc_lo
	s_or_b32 vcc_lo, s2, s1
	v_cmp_eq_u32_e64 s1, 0x40f, v21
	s_wait_alu 0xfffe
	v_add_co_ci_u32_e32 v18, vcc_lo, 0, v18, vcc_lo
	v_cmp_gt_i32_e32 vcc_lo, 31, v21
	s_mul_u64 s[2:3], s[4:5], 0x5e8
	s_mul_u64 s[4:5], s[4:5], s[6:7]
	v_add_nc_u32_e32 v21, 0xfffffc10, v26
	s_wait_alu 0xfffd
	v_cndmask_b32_e32 v20, 0x7c00, v20, vcc_lo
	v_cmp_gt_i32_e32 vcc_lo, 31, v19
	s_delay_alu instid0(VALU_DEP_2)
	v_cndmask_b32_e64 v6, v20, v6, s1
	s_wait_alu 0xfffd
	v_cndmask_b32_e32 v18, 0x7c00, v18, vcc_lo
	v_cmp_lt_i32_e32 vcc_lo, 5, v27
	v_cmp_eq_u32_e64 s1, 0x40f, v19
	v_and_or_b32 v6, 0x8000, v7, v6
	s_or_b32 vcc_lo, s0, vcc_lo
	s_delay_alu instid0(VALU_DEP_2)
	v_cndmask_b32_e64 v4, v18, v4, s1
	s_wait_alu 0xfffe
	v_add_co_ci_u32_e32 v18, vcc_lo, 0, v22, vcc_lo
	v_cmp_gt_i32_e32 vcc_lo, 1, v24
	v_and_b32_e32 v6, 0xffff, v6
	v_and_or_b32 v4, 0x8000, v5, v4
	s_wait_alu 0xfffd
	v_cndmask_b32_e32 v7, v34, v23, vcc_lo
	v_cmp_gt_i32_e32 vcc_lo, 31, v28
	s_delay_alu instid0(VALU_DEP_3)
	v_lshl_or_b32 v4, v4, 16, v6
	v_sub_nc_u32_e32 v6, 0x3f1, v26
	s_wait_alu 0xfffd
	v_cndmask_b32_e32 v5, 0x7c00, v18, vcc_lo
	v_cmp_ne_u32_e32 vcc_lo, 0, v10
	global_store_b32 v[12:13], v4, off
	s_wait_alu 0xfffd
	v_cndmask_b32_e64 v10, 0, 1, vcc_lo
	v_cmp_eq_u32_e32 vcc_lo, 0x40f, v28
	s_delay_alu instid0(VALU_DEP_2) | instskip(SKIP_2) | instid1(VALU_DEP_2)
	v_and_or_b32 v10, 0xffe, v25, v10
	s_wait_alu 0xfffd
	v_dual_cndmask_b32 v0, v5, v0 :: v_dual_and_b32 v5, 7, v7
	v_or_b32_e32 v4, 0x1000, v10
	s_delay_alu instid0(VALU_DEP_2) | instskip(NEXT) | instid1(VALU_DEP_3)
	v_and_or_b32 v18, 0x8000, v1, v0
	v_cmp_lt_i32_e32 vcc_lo, 5, v5
	v_cmp_eq_u32_e64 s0, 3, v5
	v_lshrrev_b32_e32 v0, 2, v7
	v_and_or_b32 v5, 0x1ff, v17, v16
	v_med3_i32 v1, v6, 0, 13
	v_lshrrev_b32_e32 v7, 8, v17
	s_or_b32 vcc_lo, s0, vcc_lo
	v_bfe_u32 v16, v17, 20, 11
	s_wait_alu 0xfffe
	v_add_co_ci_u32_e32 v0, vcc_lo, 0, v0, vcc_lo
	v_cmp_ne_u32_e32 vcc_lo, 0, v5
	v_lshrrev_b32_e32 v6, v1, v4
	v_lshl_or_b32 v22, v21, 12, v10
	s_wait_alu 0xfffd
	v_cndmask_b32_e64 v5, 0, 1, vcc_lo
	v_cmp_gt_i32_e32 vcc_lo, 31, v24
	v_lshlrev_b32_e32 v3, v1, v6
	s_delay_alu instid0(VALU_DEP_3)
	v_and_or_b32 v20, 0xffe, v7, v5
	s_wait_alu 0xfffd
	v_cndmask_b32_e32 v19, 0x7c00, v0, vcc_lo
	v_cmp_ne_u32_e32 vcc_lo, 0, v8
	v_cvt_f32_f16_e32 v0, v2
	v_sub_nc_u32_e32 v2, 0x3f1, v16
	v_or_b32_e32 v7, 0x1000, v20
	s_wait_alu 0xfffd
	v_cndmask_b32_e64 v5, 0, 1, vcc_lo
	v_cmp_ne_u32_e32 vcc_lo, v3, v4
	v_med3_i32 v8, v2, 0, 13
	v_mul_f64_e32 v[2:3], s[8:9], v[14:15]
	v_cvt_f64_f32_e32 v[0:1], v0
	v_lshl_or_b32 v15, v5, 9, 0x7c00
	s_wait_alu 0xfffd
	v_cndmask_b32_e64 v4, 0, 1, vcc_lo
	v_cmp_eq_u32_e32 vcc_lo, 0x40f, v24
	v_lshrrev_b32_e32 v14, v8, v7
	s_delay_alu instid0(VALU_DEP_3)
	v_or_b32_e32 v6, v6, v4
	s_wait_alu 0xfffd
	v_cndmask_b32_e32 v15, v19, v15, vcc_lo
	v_cmp_gt_i32_e32 vcc_lo, 1, v21
	v_lshlrev_b32_e32 v8, v8, v14
	ds_load_2addr_b32 v[4:5], v56 offset0:126 offset1:189
	v_and_or_b32 v9, 0x8000, v9, v15
	s_wait_alu 0xfffd
	v_cndmask_b32_e32 v6, v22, v6, vcc_lo
	v_cmp_ne_u32_e32 vcc_lo, v8, v7
	v_add_nc_u32_e32 v8, 0xfffffc10, v16
	s_delay_alu instid0(VALU_DEP_3)
	v_and_b32_e32 v16, 7, v6
	s_wait_alu 0xfffd
	v_cndmask_b32_e64 v7, 0, 1, vcc_lo
	v_lshrrev_b32_e32 v6, 2, v6
	v_cmp_gt_i32_e64 s1, 1, v8
	v_cmp_lt_i32_e32 vcc_lo, 5, v16
	v_cmp_eq_u32_e64 s0, 3, v16
	v_or_b32_e32 v7, v14, v7
	v_lshl_or_b32 v14, v8, 12, v20
	s_delay_alu instid0(VALU_DEP_3) | instskip(SKIP_2) | instid1(VALU_DEP_2)
	s_or_b32 vcc_lo, s0, vcc_lo
	s_wait_alu 0xfffe
	v_add_co_ci_u32_e32 v6, vcc_lo, 0, v6, vcc_lo
	v_cndmask_b32_e64 v7, v14, v7, s1
	v_cmp_ne_u32_e32 vcc_lo, 0, v10
	s_wait_dscnt 0x0
	v_lshrrev_b32_e32 v14, 16, v4
	v_and_or_b32 v2, 0x1ff, v3, v2
	v_mul_f64_e32 v[0:1], s[8:9], v[0:1]
	v_and_b32_e32 v16, 7, v7
	s_wait_alu 0xfffd
	v_cndmask_b32_e64 v10, 0, 1, vcc_lo
	v_cmp_gt_i32_e32 vcc_lo, 31, v21
	v_cmp_ne_u32_e64 s1, 0, v2
	v_bfe_u32 v22, v3, 20, 11
	v_cmp_eq_u32_e64 s0, 3, v16
	v_lshl_or_b32 v10, v10, 9, 0x7c00
	s_wait_alu 0xfffd
	v_cndmask_b32_e32 v19, 0x7c00, v6, vcc_lo
	v_cmp_lt_i32_e32 vcc_lo, 5, v16
	v_lshrrev_b32_e32 v16, 2, v7
	s_wait_alu 0xf1ff
	v_cndmask_b32_e64 v2, 0, 1, s1
	s_or_b32 vcc_lo, s0, vcc_lo
	s_wait_alu 0xfffe
	v_add_co_ci_u32_e32 v16, vcc_lo, 0, v16, vcc_lo
	v_cmp_ne_u32_e32 vcc_lo, 0, v20
	s_wait_alu 0xfffd
	v_cndmask_b32_e64 v20, 0, 1, vcc_lo
	v_cmp_gt_i32_e32 vcc_lo, 31, v8
	s_delay_alu instid0(VALU_DEP_2)
	v_lshl_or_b32 v20, v20, 9, 0x7c00
	s_wait_alu 0xfffd
	v_cndmask_b32_e32 v16, 0x7c00, v16, vcc_lo
	v_cmp_eq_u32_e32 vcc_lo, 0x40f, v21
	s_wait_alu 0xfffd
	v_cndmask_b32_e32 v10, v19, v10, vcc_lo
	v_cmp_eq_u32_e32 vcc_lo, 0x40f, v8
	v_and_b32_e32 v15, 0xffff, v18
	v_mul_f16_e32 v18, v68, v14
	v_and_or_b32 v0, 0x1ff, v1, v0
	v_and_or_b32 v10, 0x8000, v11, v10
	s_wait_alu 0xfffd
	v_cndmask_b32_e32 v8, v16, v20, vcc_lo
	v_lshrrev_b32_e32 v16, 16, v17
	v_fmac_f16_e32 v18, v66, v4
	v_lshl_or_b32 v17, v9, 16, v15
	v_mul_f16_e32 v4, v68, v4
	v_add_nc_u32_e32 v20, 0x600, v56
	v_and_or_b32 v15, 0x8000, v16, v8
	v_cvt_f32_f16_e32 v6, v18
	v_lshrrev_b32_e32 v18, 8, v3
	v_fma_f16 v4, v66, v14, -v4
	v_bfe_u32 v14, v1, 20, 11
	v_add_nc_u32_e32 v16, 0xfffffc10, v22
	v_cvt_f64_f32_e32 v[6:7], v6
	v_and_or_b32 v2, 0xffe, v18, v2
	v_sub_nc_u32_e32 v18, 0x3f1, v22
	v_cvt_f32_f16_e32 v4, v4
	v_sub_nc_u32_e32 v11, 0x3f1, v14
	v_and_b32_e32 v22, 0xffff, v10
	v_or_b32_e32 v23, 0x1000, v2
	v_med3_i32 v18, v18, 0, 13
	v_lshrrev_b32_e32 v3, 16, v3
	v_med3_i32 v21, v11, 0, 13
	ds_load_2addr_b32 v[10:11], v20 offset0:120 offset1:183
	v_lshrrev_b32_e32 v19, v18, v23
	s_delay_alu instid0(VALU_DEP_1) | instskip(NEXT) | instid1(VALU_DEP_1)
	v_lshlrev_b32_e32 v9, v18, v19
	v_cmp_ne_u32_e32 vcc_lo, v9, v23
	v_lshrrev_b32_e32 v9, 8, v1
	s_wait_alu 0xfffd
	v_cndmask_b32_e64 v8, 0, 1, vcc_lo
	v_cmp_ne_u32_e32 vcc_lo, 0, v0
	s_delay_alu instid0(VALU_DEP_2) | instskip(SKIP_4) | instid1(VALU_DEP_3)
	v_or_b32_e32 v18, v19, v8
	s_wait_alu 0xfffd
	v_cndmask_b32_e64 v0, 0, 1, vcc_lo
	v_lshl_or_b32 v19, v16, 12, v2
	v_cmp_gt_i32_e32 vcc_lo, 1, v16
	v_and_or_b32 v0, 0xffe, v9, v0
	v_mul_f64_e32 v[6:7], s[8:9], v[6:7]
	v_cvt_f64_f32_e32 v[8:9], v4
	s_wait_alu 0xfffd
	v_cndmask_b32_e32 v18, v19, v18, vcc_lo
	v_add_co_u32 v12, vcc_lo, v12, s2
	v_or_b32_e32 v4, 0x1000, v0
	s_wait_alu 0xfffd
	v_add_co_ci_u32_e32 v13, vcc_lo, s3, v13, vcc_lo
	s_delay_alu instid0(VALU_DEP_2) | instskip(NEXT) | instid1(VALU_DEP_1)
	v_lshrrev_b32_e32 v19, v21, v4
	v_lshlrev_b32_e32 v20, v21, v19
	v_lshl_or_b32 v21, v15, 16, v22
	v_and_b32_e32 v15, 7, v18
	s_delay_alu instid0(VALU_DEP_3) | instskip(SKIP_1) | instid1(VALU_DEP_3)
	v_cmp_ne_u32_e32 vcc_lo, v20, v4
	v_add_nc_u32_e32 v20, 0xfffffc10, v14
	v_cmp_eq_u32_e64 s0, 3, v15
	v_lshrrev_b32_e32 v14, 2, v18
	s_wait_dscnt 0x0
	v_lshrrev_b32_e32 v18, 16, v10
	s_wait_alu 0xfffd
	v_cndmask_b32_e64 v4, 0, 1, vcc_lo
	v_cmp_lt_i32_e32 vcc_lo, 5, v15
	v_lshl_or_b32 v15, v20, 12, v0
	s_delay_alu instid0(VALU_DEP_3)
	v_or_b32_e32 v4, v19, v4
	s_or_b32 vcc_lo, s0, vcc_lo
	s_wait_alu 0xfffe
	v_add_co_ci_u32_e32 v14, vcc_lo, 0, v14, vcc_lo
	v_cmp_gt_i32_e32 vcc_lo, 1, v20
	v_and_or_b32 v6, 0x1ff, v7, v6
	v_mul_f64_e32 v[8:9], s[8:9], v[8:9]
	s_wait_alu 0xfffd
	v_cndmask_b32_e32 v4, v15, v4, vcc_lo
	v_mul_f16_e32 v15, v67, v18
	v_cmp_gt_i32_e32 vcc_lo, 31, v16
	v_cmp_ne_u32_e64 s0, 0, v6
	v_lshrrev_b32_e32 v23, 8, v7
	v_and_b32_e32 v22, 7, v4
	v_fmac_f16_e32 v15, v65, v10
	s_wait_alu 0xfffd
	v_cndmask_b32_e32 v19, 0x7c00, v14, vcc_lo
	v_cmp_ne_u32_e32 vcc_lo, 0, v2
	s_wait_alu 0xf1ff
	v_cndmask_b32_e64 v6, 0, 1, s0
	v_cmp_eq_u32_e64 s0, 3, v22
	v_cvt_f32_f16_e32 v14, v15
	v_lshrrev_b32_e32 v4, 2, v4
	s_wait_alu 0xfffd
	v_cndmask_b32_e64 v2, 0, 1, vcc_lo
	v_cmp_lt_i32_e32 vcc_lo, 5, v22
	v_bfe_u32 v24, v7, 20, 11
	v_cvt_f64_f32_e32 v[14:15], v14
	v_and_or_b32 v6, 0xffe, v23, v6
	v_lshl_or_b32 v2, v2, 9, 0x7c00
	s_or_b32 vcc_lo, s0, vcc_lo
	v_sub_nc_u32_e32 v22, 0x3f1, v24
	s_wait_alu 0xfffe
	v_add_co_ci_u32_e32 v4, vcc_lo, 0, v4, vcc_lo
	v_cmp_ne_u32_e32 vcc_lo, 0, v0
	v_or_b32_e32 v23, 0x1000, v6
	v_med3_i32 v22, v22, 0, 13
	v_mul_f16_e32 v10, v67, v10
	v_lshrrev_b32_e32 v7, 16, v7
	s_wait_alu 0xfffd
	v_cndmask_b32_e64 v0, 0, 1, vcc_lo
	v_cmp_gt_i32_e32 vcc_lo, 31, v20
	v_fma_f16 v10, v65, v18, -v10
	s_delay_alu instid0(VALU_DEP_3)
	v_lshl_or_b32 v0, v0, 9, 0x7c00
	s_wait_alu 0xfffd
	v_cndmask_b32_e32 v4, 0x7c00, v4, vcc_lo
	v_cmp_eq_u32_e32 vcc_lo, 0x40f, v16
	v_lshrrev_b32_e32 v16, v22, v23
	v_bfe_u32 v18, v9, 20, 11
	v_cvt_f32_f16_e32 v10, v10
	s_wait_alu 0xfffd
	v_cndmask_b32_e32 v2, v19, v2, vcc_lo
	v_cmp_eq_u32_e32 vcc_lo, 0x40f, v20
	v_lshlrev_b32_e32 v20, v22, v16
	v_lshrrev_b32_e32 v19, 16, v1
	s_delay_alu instid0(VALU_DEP_4)
	v_and_or_b32 v22, 0x8000, v3, v2
	s_wait_alu 0xfffd
	v_cndmask_b32_e32 v4, v4, v0, vcc_lo
	v_add_co_u32 v0, vcc_lo, v12, s4
	s_wait_alu 0xfffd
	v_add_co_ci_u32_e32 v1, vcc_lo, s5, v13, vcc_lo
	v_and_or_b32 v2, 0x1ff, v9, v8
	v_cmp_ne_u32_e32 vcc_lo, v20, v23
	v_and_or_b32 v4, 0x8000, v19, v4
	v_add_nc_u32_e32 v19, 0xfffffc10, v24
	v_and_b32_e32 v22, 0xffff, v22
	s_clause 0x1
	global_store_b32 v[12:13], v17, off
	global_store_b32 v[0:1], v21, off
	s_wait_alu 0xfffd
	v_cndmask_b32_e64 v8, 0, 1, vcc_lo
	v_cmp_ne_u32_e32 vcc_lo, 0, v2
	v_mul_f64_e32 v[2:3], s[8:9], v[14:15]
	v_lshrrev_b32_e32 v14, 8, v9
	v_lshl_or_b32 v15, v19, 12, v6
	v_or_b32_e32 v8, v16, v8
	s_wait_alu 0xfffd
	v_cndmask_b32_e64 v20, 0, 1, vcc_lo
	v_cmp_gt_i32_e32 vcc_lo, 1, v19
	v_lshl_or_b32 v17, v4, 16, v22
	v_lshrrev_b32_e32 v9, 16, v9
	v_add_co_u32 v0, s1, v0, s2
	v_and_or_b32 v16, 0xffe, v14, v20
	v_sub_nc_u32_e32 v20, 0x3f1, v18
	s_wait_alu 0xfffd
	v_cndmask_b32_e32 v8, v15, v8, vcc_lo
	v_cvt_f64_f32_e32 v[14:15], v10
	s_wait_alu 0xf1ff
	v_add_co_ci_u32_e64 v1, s1, s3, v1, s1
	v_or_b32_e32 v10, 0x1000, v16
	v_med3_i32 v20, v20, 0, 13
	v_and_b32_e32 v23, 7, v8
	v_lshrrev_b32_e32 v4, 2, v8
	global_store_b32 v[0:1], v17, off
	v_add_co_u32 v0, s1, v0, s4
	v_lshrrev_b32_e32 v12, v20, v10
	v_cmp_lt_i32_e32 vcc_lo, 5, v23
	v_cmp_eq_u32_e64 s0, 3, v23
	s_wait_alu 0xf1ff
	v_add_co_ci_u32_e64 v1, s1, s5, v1, s1
	v_lshlrev_b32_e32 v8, v20, v12
	s_delay_alu instid0(VALU_DEP_3) | instskip(SKIP_2) | instid1(VALU_DEP_2)
	s_or_b32 vcc_lo, s0, vcc_lo
	s_wait_alu 0xfffe
	v_add_co_ci_u32_e32 v4, vcc_lo, 0, v4, vcc_lo
	v_cmp_ne_u32_e32 vcc_lo, v8, v10
	v_add_nc_u32_e32 v10, 0xfffffc10, v18
	v_lshrrev_b32_e32 v18, 16, v5
	v_and_or_b32 v2, 0x1ff, v3, v2
	s_wait_alu 0xfffd
	v_cndmask_b32_e64 v8, 0, 1, vcc_lo
	v_cmp_gt_i32_e32 vcc_lo, 31, v19
	v_mul_f16_e32 v20, v64, v18
	v_lshrrev_b32_e32 v21, 8, v3
	v_bfe_u32 v22, v3, 20, 11
	v_or_b32_e32 v8, v12, v8
	s_wait_alu 0xfffd
	v_cndmask_b32_e32 v4, 0x7c00, v4, vcc_lo
	v_cmp_ne_u32_e32 vcc_lo, 0, v6
	v_lshl_or_b32 v12, v10, 12, v16
	v_fmac_f16_e32 v20, v62, v5
	v_mul_f16_e32 v5, v64, v5
	s_wait_alu 0xfffd
	v_cndmask_b32_e64 v6, 0, 1, vcc_lo
	v_cmp_gt_i32_e32 vcc_lo, 1, v10
	s_delay_alu instid0(VALU_DEP_3) | instskip(NEXT) | instid1(VALU_DEP_3)
	v_fma_f16 v5, v62, v18, -v5
	v_lshl_or_b32 v6, v6, 9, 0x7c00
	s_wait_alu 0xfffd
	v_cndmask_b32_e32 v8, v12, v8, vcc_lo
	v_cmp_ne_u32_e32 vcc_lo, 0, v2
	v_mul_f64_e32 v[12:13], s[8:9], v[14:15]
	v_cvt_f32_f16_e32 v14, v20
	v_cvt_f32_f16_e32 v5, v5
	v_and_b32_e32 v20, 7, v8
	s_wait_alu 0xfffd
	v_cndmask_b32_e64 v2, 0, 1, vcc_lo
	v_cmp_eq_u32_e32 vcc_lo, 0x40f, v19
	v_cvt_f64_f32_e32 v[14:15], v14
	v_lshrrev_b32_e32 v8, 2, v8
	v_cmp_eq_u32_e64 s0, 3, v20
	v_and_or_b32 v2, 0xffe, v21, v2
	v_sub_nc_u32_e32 v21, 0x3f1, v22
	s_wait_alu 0xfffd
	v_cndmask_b32_e32 v6, v4, v6, vcc_lo
	v_cmp_lt_i32_e32 vcc_lo, 5, v20
	v_or_b32_e32 v4, 0x1000, v2
	v_med3_i32 v19, v21, 0, 13
	s_or_b32 vcc_lo, s0, vcc_lo
	s_wait_alu 0xfffe
	v_add_co_ci_u32_e32 v8, vcc_lo, 0, v8, vcc_lo
	s_delay_alu instid0(VALU_DEP_2) | instskip(SKIP_1) | instid1(VALU_DEP_2)
	v_lshrrev_b32_e32 v20, v19, v4
	v_cmp_ne_u32_e32 vcc_lo, 0, v16
	v_lshlrev_b32_e32 v18, v19, v20
	s_wait_alu 0xfffd
	v_cndmask_b32_e64 v16, 0, 1, vcc_lo
	v_cmp_gt_i32_e32 vcc_lo, 31, v10
	v_add_nc_u32_e32 v19, 0xfffffc10, v22
	v_add_nc_u32_e32 v22, 0x200, v56
	s_delay_alu instid0(VALU_DEP_4)
	v_lshl_or_b32 v16, v16, 9, 0x7c00
	s_wait_alu 0xfffd
	v_cndmask_b32_e32 v8, 0x7c00, v8, vcc_lo
	v_cmp_ne_u32_e32 vcc_lo, v18, v4
	v_cvt_f64_f32_e32 v[4:5], v5
	v_and_or_b32 v12, 0x1ff, v13, v12
	s_wait_alu 0xfffd
	v_cndmask_b32_e64 v18, 0, 1, vcc_lo
	v_cmp_eq_u32_e32 vcc_lo, 0x40f, v10
	s_delay_alu instid0(VALU_DEP_2)
	v_or_b32_e32 v10, v20, v18
	s_wait_alu 0xfffd
	v_cndmask_b32_e32 v8, v8, v16, vcc_lo
	v_lshl_or_b32 v16, v19, 12, v2
	v_cmp_gt_i32_e32 vcc_lo, 1, v19
	v_and_or_b32 v18, 0x8000, v7, v6
	v_mul_f64_e32 v[6:7], s[8:9], v[14:15]
	v_and_or_b32 v8, 0x8000, v9, v8
	v_bfe_u32 v14, v13, 20, 11
	s_wait_alu 0xfffd
	v_cndmask_b32_e32 v9, v16, v10, vcc_lo
	v_cmp_ne_u32_e32 vcc_lo, 0, v12
	v_lshrrev_b32_e32 v12, 8, v13
	v_and_b32_e32 v15, 0xffff, v18
	v_lshrrev_b32_e32 v13, 16, v13
	v_and_b32_e32 v16, 7, v9
	s_wait_alu 0xfffd
	v_cndmask_b32_e64 v10, 0, 1, vcc_lo
	v_lshrrev_b32_e32 v9, 2, v9
	v_lshl_or_b32 v8, v8, 16, v15
	v_cmp_lt_i32_e32 vcc_lo, 5, v16
	s_delay_alu instid0(VALU_DEP_4)
	v_and_or_b32 v10, 0xffe, v12, v10
	v_sub_nc_u32_e32 v12, 0x3f1, v14
	v_cmp_eq_u32_e64 s0, 3, v16
	v_lshrrev_b32_e32 v16, 16, v11
	global_store_b32 v[0:1], v8, off
	v_or_b32_e32 v15, 0x1000, v10
	v_med3_i32 v12, v12, 0, 13
	s_or_b32 vcc_lo, s0, vcc_lo
	v_mul_f16_e32 v18, v63, v16
	s_wait_alu 0xfffe
	v_add_co_ci_u32_e32 v9, vcc_lo, 0, v9, vcc_lo
	v_lshrrev_b32_e32 v17, v12, v15
	v_cmp_gt_i32_e32 vcc_lo, 31, v19
	v_mul_f64_e32 v[4:5], s[8:9], v[4:5]
	v_fmac_f16_e32 v18, v61, v11
	s_delay_alu instid0(VALU_DEP_4) | instskip(SKIP_2) | instid1(VALU_DEP_3)
	v_lshlrev_b32_e32 v12, v12, v17
	s_wait_alu 0xfffd
	v_cndmask_b32_e32 v20, 0x7c00, v9, vcc_lo
	v_cvt_f32_f16_e32 v9, v18
	s_delay_alu instid0(VALU_DEP_3)
	v_cmp_ne_u32_e32 vcc_lo, v12, v15
	v_add_nc_u32_e32 v12, 0xfffffc10, v14
	v_and_or_b32 v6, 0x1ff, v7, v6
	s_wait_alu 0xfffd
	v_cndmask_b32_e64 v8, 0, 1, vcc_lo
	v_cmp_ne_u32_e32 vcc_lo, 0, v2
	v_lshl_or_b32 v15, v12, 12, v10
	s_delay_alu instid0(VALU_DEP_3)
	v_or_b32_e32 v14, v17, v8
	s_wait_alu 0xfffd
	v_cndmask_b32_e64 v2, 0, 1, vcc_lo
	v_cmp_gt_i32_e32 vcc_lo, 1, v12
	v_cvt_f64_f32_e32 v[8:9], v9
	v_bfe_u32 v17, v7, 20, 11
	s_delay_alu instid0(VALU_DEP_4)
	v_lshl_or_b32 v2, v2, 9, 0x7c00
	s_wait_alu 0xfffd
	v_cndmask_b32_e32 v14, v15, v14, vcc_lo
	v_cmp_ne_u32_e32 vcc_lo, 0, v6
	v_lshrrev_b32_e32 v15, 8, v7
	v_lshrrev_b32_e32 v7, 16, v7
	s_delay_alu instid0(VALU_DEP_4)
	v_and_b32_e32 v18, 7, v14
	s_wait_alu 0xfffd
	v_cndmask_b32_e64 v6, 0, 1, vcc_lo
	v_cmp_eq_u32_e32 vcc_lo, 0x40f, v19
	v_lshrrev_b32_e32 v14, 2, v14
	v_cmp_eq_u32_e64 s0, 3, v18
	s_delay_alu instid0(VALU_DEP_4)
	v_and_or_b32 v6, 0xffe, v15, v6
	s_wait_alu 0xfffd
	v_cndmask_b32_e32 v19, v20, v2, vcc_lo
	v_sub_nc_u32_e32 v2, 0x3f1, v17
	v_cmp_lt_i32_e32 vcc_lo, 5, v18
	v_lshrrev_b32_e32 v18, 16, v3
	v_or_b32_e32 v15, 0x1000, v6
	v_and_or_b32 v3, 0x1ff, v5, v4
	v_med3_i32 v2, v2, 0, 13
	s_or_b32 vcc_lo, s0, vcc_lo
	v_mul_f16_e32 v4, v63, v11
	s_wait_alu 0xfffe
	v_add_co_ci_u32_e32 v14, vcc_lo, 0, v14, vcc_lo
	v_lshrrev_b32_e32 v20, v2, v15
	v_cmp_ne_u32_e32 vcc_lo, 0, v10
	v_fma_f16 v4, v61, v16, -v4
	v_lshrrev_b32_e32 v11, 8, v5
	v_bfe_u32 v16, v5, 20, 11
	v_lshlrev_b32_e32 v2, v2, v20
	s_wait_alu 0xfffd
	v_cndmask_b32_e64 v10, 0, 1, vcc_lo
	v_cmp_ne_u32_e32 vcc_lo, 0, v3
	v_cvt_f32_f16_e32 v4, v4
	v_add_nc_u32_e32 v17, 0xfffffc10, v17
	v_and_or_b32 v18, 0x8000, v18, v19
	v_lshl_or_b32 v10, v10, 9, 0x7c00
	s_wait_alu 0xfffd
	v_cndmask_b32_e64 v3, 0, 1, vcc_lo
	v_cmp_ne_u32_e32 vcc_lo, v2, v15
	s_delay_alu instid0(VALU_DEP_2)
	v_and_or_b32 v21, 0xffe, v11, v3
	s_wait_alu 0xfffd
	v_cndmask_b32_e64 v15, 0, 1, vcc_lo
	v_sub_nc_u32_e32 v11, 0x3f1, v16
	v_cmp_gt_i32_e32 vcc_lo, 31, v12
	v_mul_f64_e32 v[2:3], s[8:9], v[8:9]
	v_cvt_f64_f32_e32 v[8:9], v4
	v_or_b32_e32 v4, v20, v15
	v_lshl_or_b32 v15, v17, 12, v6
	v_or_b32_e32 v20, 0x1000, v21
	v_med3_i32 v11, v11, 0, 13
	s_wait_alu 0xfffd
	v_cndmask_b32_e32 v14, 0x7c00, v14, vcc_lo
	v_cmp_gt_i32_e32 vcc_lo, 1, v17
	v_add_nc_u32_e32 v16, 0xfffffc10, v16
	s_wait_alu 0xfffd
	v_cndmask_b32_e32 v4, v15, v4, vcc_lo
	v_lshrrev_b32_e32 v15, v11, v20
	v_cmp_eq_u32_e32 vcc_lo, 0x40f, v12
	s_wait_alu 0xfffd
	s_delay_alu instid0(VALU_DEP_2)
	v_dual_cndmask_b32 v12, v14, v10 :: v_dual_lshlrev_b32 v23, v11, v15
	v_and_b32_e32 v14, 7, v4
	ds_load_2addr_b32 v[10:11], v22 offset0:124 offset1:187
	v_lshrrev_b32_e32 v4, 2, v4
	v_cmp_ne_u32_e64 s0, v23, v20
	v_and_or_b32 v19, 0x8000, v13, v12
	v_cmp_lt_i32_e32 vcc_lo, 5, v14
	v_lshl_or_b32 v13, v16, 12, v21
	s_wait_alu 0xf1ff
	v_cndmask_b32_e64 v12, 0, 1, s0
	v_cmp_eq_u32_e64 s0, 3, v14
	v_and_b32_e32 v14, 0xffff, v18
	s_delay_alu instid0(VALU_DEP_3) | instskip(NEXT) | instid1(VALU_DEP_3)
	v_or_b32_e32 v12, v15, v12
	s_or_b32 vcc_lo, s0, vcc_lo
	s_delay_alu instid0(VALU_DEP_2)
	v_lshl_or_b32 v19, v19, 16, v14
	s_wait_alu 0xfffe
	v_add_co_ci_u32_e32 v4, vcc_lo, 0, v4, vcc_lo
	v_cmp_ne_u32_e32 vcc_lo, 0, v6
	v_and_or_b32 v2, 0x1ff, v3, v2
	v_mul_f64_e32 v[8:9], s[8:9], v[8:9]
	s_wait_dscnt 0x0
	v_lshrrev_b32_e32 v15, 16, v10
	v_lshrrev_b32_e32 v20, 8, v3
	s_wait_alu 0xfffd
	v_cndmask_b32_e64 v6, 0, 1, vcc_lo
	v_cmp_gt_i32_e32 vcc_lo, 1, v16
	v_bfe_u32 v22, v3, 20, 11
	v_lshrrev_b32_e32 v3, 16, v3
	s_delay_alu instid0(VALU_DEP_4) | instskip(SKIP_4) | instid1(VALU_DEP_3)
	v_lshl_or_b32 v6, v6, 9, 0x7c00
	s_wait_alu 0xfffd
	v_cndmask_b32_e32 v12, v13, v12, vcc_lo
	v_cmp_gt_i32_e32 vcc_lo, 31, v17
	v_mul_f16_e32 v13, v60, v15
	v_and_b32_e32 v18, 7, v12
	s_wait_alu 0xfffd
	v_cndmask_b32_e32 v4, 0x7c00, v4, vcc_lo
	v_cmp_ne_u32_e32 vcc_lo, 0, v2
	v_fmac_f16_e32 v13, v59, v10
	v_cmp_eq_u32_e64 s0, 3, v18
	s_wait_alu 0xfffd
	v_cndmask_b32_e64 v2, 0, 1, vcc_lo
	v_cmp_eq_u32_e32 vcc_lo, 0x40f, v17
	v_sub_nc_u32_e32 v17, 0x3f1, v22
	s_delay_alu instid0(VALU_DEP_3)
	v_and_or_b32 v2, 0xffe, v20, v2
	s_wait_alu 0xfffd
	v_cndmask_b32_e32 v4, v4, v6, vcc_lo
	v_cvt_f32_f16_e32 v6, v13
	v_cmp_lt_i32_e32 vcc_lo, 5, v18
	v_lshrrev_b32_e32 v18, 2, v12
	v_med3_i32 v17, v17, 0, 13
	v_and_or_b32 v23, 0x8000, v7, v4
	v_cvt_f64_f32_e32 v[12:13], v6
	s_or_b32 vcc_lo, s0, vcc_lo
	v_or_b32_e32 v6, 0x1000, v2
	s_wait_alu 0xfffe
	v_add_co_ci_u32_e32 v18, vcc_lo, 0, v18, vcc_lo
	v_cmp_ne_u32_e32 vcc_lo, 0, v21
	v_mul_f16_e32 v4, v60, v10
	v_lshrrev_b32_e32 v21, v17, v6
	v_and_b32_e32 v14, 0xffff, v23
	s_wait_alu 0xfffd
	v_cndmask_b32_e64 v20, 0, 1, vcc_lo
	v_cmp_gt_i32_e32 vcc_lo, 31, v16
	v_lshlrev_b32_e32 v7, v17, v21
	v_fma_f16 v4, v59, v15, -v4
	v_lshrrev_b32_e32 v15, 8, v9
	v_lshl_or_b32 v20, v20, 9, 0x7c00
	s_wait_alu 0xfffd
	v_cndmask_b32_e32 v18, 0x7c00, v18, vcc_lo
	v_cmp_eq_u32_e32 vcc_lo, 0x40f, v16
	v_lshrrev_b32_e32 v16, 16, v5
	v_and_or_b32 v5, 0x1ff, v9, v8
	v_cvt_f32_f16_e32 v4, v4
	v_add_nc_u32_e32 v8, 0xfffffc10, v22
	s_wait_alu 0xfffd
	v_cndmask_b32_e32 v10, v18, v20, vcc_lo
	v_cmp_ne_u32_e32 vcc_lo, v7, v6
	v_bfe_u32 v17, v9, 20, 11
	v_add_nc_u32_e32 v18, 0x800, v56
	s_delay_alu instid0(VALU_DEP_4)
	v_and_or_b32 v10, 0x8000, v16, v10
	s_wait_alu 0xfffd
	v_cndmask_b32_e64 v6, 0, 1, vcc_lo
	v_cmp_ne_u32_e32 vcc_lo, 0, v5
	v_cvt_f64_f32_e32 v[4:5], v4
	v_lshl_or_b32 v10, v10, 16, v14
	s_delay_alu instid0(VALU_DEP_4)
	v_or_b32_e32 v20, v21, v6
	s_wait_alu 0xfffd
	v_cndmask_b32_e64 v7, 0, 1, vcc_lo
	v_lshl_or_b32 v21, v8, 12, v2
	v_cmp_gt_i32_e32 vcc_lo, 1, v8
	v_mul_f64_e32 v[12:13], s[8:9], v[12:13]
	s_delay_alu instid0(VALU_DEP_4)
	v_and_or_b32 v22, 0xffe, v15, v7
	ds_load_2addr_b32 v[6:7], v18 offset0:118 offset1:181
	v_sub_nc_u32_e32 v15, 0x3f1, v17
	s_wait_alu 0xfffd
	v_cndmask_b32_e32 v18, v21, v20, vcc_lo
	v_add_co_u32 v0, vcc_lo, v0, s2
	v_or_b32_e32 v20, 0x1000, v22
	v_med3_i32 v15, v15, 0, 13
	s_delay_alu instid0(VALU_DEP_4) | instskip(SKIP_2) | instid1(VALU_DEP_3)
	v_and_b32_e32 v16, 7, v18
	s_wait_alu 0xfffd
	v_add_co_ci_u32_e32 v1, vcc_lo, s3, v1, vcc_lo
	v_lshrrev_b32_e32 v21, v15, v20
	s_delay_alu instid0(VALU_DEP_3) | instskip(SKIP_1) | instid1(VALU_DEP_3)
	v_cmp_lt_i32_e32 vcc_lo, 5, v16
	v_cmp_eq_u32_e64 s0, 3, v16
	v_lshlrev_b32_e32 v14, v15, v21
	v_lshrrev_b32_e32 v15, 2, v18
	s_delay_alu instid0(VALU_DEP_3)
	s_or_b32 vcc_lo, s0, vcc_lo
	v_add_nc_u32_e32 v18, 0xfffffc10, v17
	s_wait_dscnt 0x0
	v_lshrrev_b32_e32 v23, 16, v6
	v_cmp_ne_u32_e64 s1, v14, v20
	s_wait_alu 0xfffe
	v_add_co_ci_u32_e32 v15, vcc_lo, 0, v15, vcc_lo
	v_cmp_ne_u32_e32 vcc_lo, 0, v2
	v_mul_f16_e32 v16, v58, v23
	s_wait_alu 0xf1ff
	v_cndmask_b32_e64 v14, 0, 1, s1
	v_lshl_or_b32 v17, v18, 12, v22
	v_mul_f64_e32 v[4:5], s[8:9], v[4:5]
	s_wait_alu 0xfffd
	v_cndmask_b32_e64 v2, 0, 1, vcc_lo
	v_fmac_f16_e32 v16, v57, v6
	v_or_b32_e32 v14, v21, v14
	v_cmp_gt_i32_e32 vcc_lo, 1, v18
	v_mul_f16_e32 v6, v58, v6
	v_lshl_or_b32 v2, v2, 9, 0x7c00
	v_and_or_b32 v12, 0x1ff, v13, v12
	s_wait_alu 0xfffd
	v_cndmask_b32_e32 v20, v17, v14, vcc_lo
	v_cvt_f32_f16_e32 v14, v16
	v_cmp_gt_i32_e32 vcc_lo, 31, v8
	v_fma_f16 v6, v57, v23, -v6
	v_cmp_ne_u32_e64 s0, 0, v12
	v_and_b32_e32 v24, 7, v20
	v_lshrrev_b32_e32 v20, 2, v20
	s_wait_alu 0xfffd
	v_cndmask_b32_e32 v21, 0x7c00, v15, vcc_lo
	v_cvt_f64_f32_e32 v[14:15], v14
	v_add_co_u32 v16, vcc_lo, v0, s4
	s_wait_alu 0xfffd
	v_add_co_ci_u32_e32 v17, vcc_lo, s5, v1, vcc_lo
	v_cmp_eq_u32_e32 vcc_lo, 0x40f, v8
	s_wait_alu 0xf1ff
	v_cndmask_b32_e64 v8, 0, 1, s0
	v_cmp_eq_u32_e64 s0, 3, v24
	v_lshrrev_b32_e32 v12, 8, v13
	v_cvt_f32_f16_e32 v6, v6
	s_wait_alu 0xfffd
	v_cndmask_b32_e32 v2, v21, v2, vcc_lo
	v_cmp_lt_i32_e32 vcc_lo, 5, v24
	v_bfe_u32 v21, v13, 20, 11
	v_and_or_b32 v12, 0xffe, v12, v8
	global_store_b32 v[0:1], v19, off
	global_store_b32 v[16:17], v10, off
	v_and_or_b32 v25, 0x8000, v3, v2
	s_or_b32 vcc_lo, s0, vcc_lo
	v_sub_nc_u32_e32 v8, 0x3f1, v21
	s_wait_alu 0xfffe
	v_add_co_ci_u32_e32 v20, vcc_lo, 0, v20, vcc_lo
	v_cmp_ne_u32_e32 vcc_lo, 0, v22
	v_or_b32_e32 v24, 0x1000, v12
	v_med3_i32 v8, v8, 0, 13
	v_and_or_b32 v2, 0x1ff, v5, v4
	v_add_nc_u32_e32 v21, 0xfffffc10, v21
	s_wait_alu 0xfffd
	v_cndmask_b32_e64 v22, 0, 1, vcc_lo
	v_cmp_gt_i32_e32 vcc_lo, 31, v18
	v_lshrrev_b32_e32 v26, v8, v24
	v_lshrrev_b32_e32 v13, 16, v13
	v_lshl_or_b32 v23, v21, 12, v12
	v_lshl_or_b32 v22, v22, 9, 0x7c00
	s_wait_alu 0xfffd
	v_cndmask_b32_e32 v20, 0x7c00, v20, vcc_lo
	v_cmp_eq_u32_e32 vcc_lo, 0x40f, v18
	v_lshlrev_b32_e32 v8, v8, v26
	v_lshrrev_b32_e32 v18, 16, v9
	v_cmp_eq_u32_e64 s1, 0x40f, v21
	s_wait_alu 0xfffd
	v_cndmask_b32_e32 v4, v20, v22, vcc_lo
	v_cmp_ne_u32_e32 vcc_lo, 0, v2
	v_lshrrev_b32_e32 v20, 8, v5
	v_bfe_u32 v22, v5, 20, 11
	v_mul_f64_e32 v[2:3], s[8:9], v[14:15]
	v_and_or_b32 v4, 0x8000, v18, v4
	s_wait_alu 0xfffd
	v_cndmask_b32_e64 v9, 0, 1, vcc_lo
	v_cmp_ne_u32_e32 vcc_lo, v8, v24
	v_sub_nc_u32_e32 v14, 0x3f1, v22
	v_add_nc_u32_e32 v10, 0xfffffc10, v22
	v_lshrrev_b32_e32 v5, 16, v5
	v_and_or_b32 v20, 0xffe, v20, v9
	s_wait_alu 0xfffd
	v_cndmask_b32_e64 v8, 0, 1, vcc_lo
	v_cmp_gt_i32_e32 vcc_lo, 1, v21
	s_delay_alu instid0(VALU_DEP_3) | instskip(NEXT) | instid1(VALU_DEP_3)
	v_or_b32_e32 v24, 0x1000, v20
	v_or_b32_e32 v15, v26, v8
	v_cvt_f64_f32_e32 v[8:9], v6
	v_med3_i32 v6, v14, 0, 13
	s_wait_alu 0xfffd
	s_delay_alu instid0(VALU_DEP_3) | instskip(SKIP_1) | instid1(VALU_DEP_3)
	v_dual_cndmask_b32 v15, v23, v15 :: v_dual_and_b32 v14, 0xffff, v25
	v_add_co_u32 v0, vcc_lo, v16, s2
	v_lshrrev_b32_e32 v18, v6, v24
	s_delay_alu instid0(VALU_DEP_3) | instskip(NEXT) | instid1(VALU_DEP_4)
	v_lshl_or_b32 v19, v4, 16, v14
	v_and_b32_e32 v4, 7, v15
	s_wait_alu 0xfffd
	v_add_co_ci_u32_e32 v1, vcc_lo, s3, v17, vcc_lo
	v_lshlrev_b32_e32 v6, v6, v18
	v_lshrrev_b32_e32 v16, 16, v11
	v_cmp_lt_i32_e32 vcc_lo, 5, v4
	s_delay_alu instid0(VALU_DEP_3) | instskip(NEXT) | instid1(VALU_DEP_3)
	v_cmp_ne_u32_e64 s0, v6, v24
	v_mul_f16_e32 v14, v55, v16
	s_wait_alu 0xf1ff
	s_delay_alu instid0(VALU_DEP_2)
	v_cndmask_b32_e64 v6, 0, 1, s0
	v_cmp_eq_u32_e64 s0, 3, v4
	v_lshrrev_b32_e32 v4, 2, v15
	v_lshl_or_b32 v15, v10, 12, v20
	v_and_or_b32 v2, 0x1ff, v3, v2
	v_or_b32_e32 v6, v18, v6
	s_or_b32 vcc_lo, s0, vcc_lo
	v_fmac_f16_e32 v14, v54, v11
	s_wait_alu 0xfffe
	v_add_co_ci_u32_e32 v4, vcc_lo, 0, v4, vcc_lo
	v_cmp_gt_i32_e32 vcc_lo, 1, v10
	v_lshrrev_b32_e32 v17, 8, v3
	v_cvt_f32_f16_e32 v14, v14
	v_bfe_u32 v18, v3, 20, 11
	s_wait_alu 0xfffd
	v_cndmask_b32_e32 v6, v15, v6, vcc_lo
	v_cmp_ne_u32_e32 vcc_lo, 0, v2
	v_cvt_f64_f32_e32 v[14:15], v14
	v_mul_f64_e32 v[8:9], s[8:9], v[8:9]
	s_delay_alu instid0(VALU_DEP_4)
	v_and_b32_e32 v22, 7, v6
	s_wait_alu 0xfffd
	v_cndmask_b32_e64 v2, 0, 1, vcc_lo
	v_cmp_ne_u32_e32 vcc_lo, 0, v12
	v_lshrrev_b32_e32 v6, 2, v6
	v_cmp_eq_u32_e64 s0, 3, v22
	s_delay_alu instid0(VALU_DEP_4)
	v_and_or_b32 v2, 0xffe, v17, v2
	s_wait_alu 0xfffd
	v_cndmask_b32_e64 v12, 0, 1, vcc_lo
	v_cmp_gt_i32_e32 vcc_lo, 31, v21
	v_sub_nc_u32_e32 v17, 0x3f1, v18
	v_add_nc_u32_e32 v18, 0xfffffc10, v18
	v_or_b32_e32 v23, 0x1000, v2
	v_lshl_or_b32 v12, v12, 9, 0x7c00
	s_wait_alu 0xfffd
	v_cndmask_b32_e32 v4, 0x7c00, v4, vcc_lo
	v_cmp_lt_i32_e32 vcc_lo, 5, v22
	v_med3_i32 v17, v17, 0, 13
	s_delay_alu instid0(VALU_DEP_3) | instskip(SKIP_1) | instid1(VALU_DEP_2)
	v_cndmask_b32_e64 v4, v4, v12, s1
	s_or_b32 vcc_lo, s0, vcc_lo
	v_lshrrev_b32_e32 v12, v17, v23
	s_wait_alu 0xfffe
	v_add_co_ci_u32_e32 v6, vcc_lo, 0, v6, vcc_lo
	v_cmp_ne_u32_e32 vcc_lo, 0, v20
	v_and_or_b32 v13, 0x8000, v13, v4
	v_lshlrev_b32_e32 v17, v17, v12
	s_wait_alu 0xfffd
	v_cndmask_b32_e64 v20, 0, 1, vcc_lo
	v_cmp_gt_i32_e32 vcc_lo, 31, v10
	v_and_b32_e32 v13, 0xffff, v13
	s_delay_alu instid0(VALU_DEP_3)
	v_lshl_or_b32 v20, v20, 9, 0x7c00
	s_wait_alu 0xfffd
	v_cndmask_b32_e32 v6, 0x7c00, v6, vcc_lo
	v_cmp_ne_u32_e32 vcc_lo, v17, v23
	v_and_or_b32 v8, 0x1ff, v9, v8
	s_wait_alu 0xfffd
	v_cndmask_b32_e64 v17, 0, 1, vcc_lo
	v_cmp_eq_u32_e32 vcc_lo, 0x40f, v10
	s_wait_alu 0xfffd
	v_cndmask_b32_e32 v4, v6, v20, vcc_lo
	s_delay_alu instid0(VALU_DEP_3)
	v_or_b32_e32 v6, v12, v17
	v_mul_f16_e32 v12, v55, v11
	v_mul_f64_e32 v[10:11], s[8:9], v[14:15]
	v_lshl_or_b32 v14, v18, 12, v2
	v_cmp_gt_i32_e32 vcc_lo, 1, v18
	v_bfe_u32 v15, v9, 20, 11
	v_fma_f16 v12, v54, v16, -v12
	v_and_or_b32 v16, 0x8000, v5, v4
	s_wait_alu 0xfffd
	v_cndmask_b32_e32 v6, v14, v6, vcc_lo
	v_cmp_ne_u32_e32 vcc_lo, 0, v8
	v_cvt_f32_f16_e32 v12, v12
	v_lshrrev_b32_e32 v14, 8, v9
	v_lshl_or_b32 v16, v16, 16, v13
	v_and_b32_e32 v17, 7, v6
	s_wait_alu 0xfffd
	v_cndmask_b32_e64 v8, 0, 1, vcc_lo
	v_cvt_f64_f32_e32 v[4:5], v12
	v_sub_nc_u32_e32 v12, 0x3f1, v15
	v_lshrrev_b32_e32 v6, 2, v6
	v_cmp_lt_i32_e32 vcc_lo, 5, v17
	v_and_or_b32 v8, 0xffe, v14, v8
	v_lshrrev_b32_e32 v14, 16, v7
	v_cmp_eq_u32_e64 s0, 3, v17
	v_med3_i32 v12, v12, 0, 13
	v_add_nc_u32_e32 v15, 0xfffffc10, v15
	v_or_b32_e32 v20, 0x1000, v8
	v_mul_f16_e32 v21, v53, v14
	s_or_b32 vcc_lo, s0, vcc_lo
	v_lshrrev_b32_e32 v9, 16, v9
	s_wait_alu 0xfffe
	v_add_co_ci_u32_e32 v6, vcc_lo, 0, v6, vcc_lo
	v_lshrrev_b32_e32 v17, v12, v20
	v_fmac_f16_e32 v21, v52, v7
	v_cmp_ne_u32_e32 vcc_lo, 0, v2
	v_mul_f16_e32 v7, v53, v7
	s_delay_alu instid0(VALU_DEP_4) | instskip(NEXT) | instid1(VALU_DEP_4)
	v_lshlrev_b32_e32 v22, v12, v17
	v_cvt_f32_f16_e32 v12, v21
	s_wait_alu 0xfffd
	v_cndmask_b32_e64 v2, 0, 1, vcc_lo
	v_cmp_gt_i32_e32 vcc_lo, 31, v18
	v_fma_f16 v7, v52, v14, -v7
	v_lshl_or_b32 v14, v15, 12, v8
	v_cvt_f64_f32_e32 v[12:13], v12
	v_lshl_or_b32 v2, v2, 9, 0x7c00
	s_wait_alu 0xfffd
	v_cndmask_b32_e32 v21, 0x7c00, v6, vcc_lo
	v_and_or_b32 v6, 0x1ff, v11, v10
	v_cmp_ne_u32_e32 vcc_lo, v22, v20
	v_lshrrev_b32_e32 v20, 8, v11
	v_cvt_f32_f16_e32 v7, v7
	s_wait_alu 0xfffd
	v_cndmask_b32_e64 v10, 0, 1, vcc_lo
	v_cmp_ne_u32_e32 vcc_lo, 0, v6
	v_mul_f64_e32 v[4:5], s[8:9], v[4:5]
	s_delay_alu instid0(VALU_DEP_3)
	v_or_b32_e32 v10, v17, v10
	s_wait_alu 0xfffd
	v_cndmask_b32_e64 v6, 0, 1, vcc_lo
	v_bfe_u32 v17, v11, 20, 11
	v_cmp_gt_i32_e32 vcc_lo, 1, v15
	v_lshrrev_b32_e32 v11, 16, v11
	s_delay_alu instid0(VALU_DEP_4) | instskip(NEXT) | instid1(VALU_DEP_4)
	v_and_or_b32 v20, 0xffe, v20, v6
	v_sub_nc_u32_e32 v6, 0x3f1, v17
	s_wait_alu 0xfffd
	v_cndmask_b32_e32 v10, v14, v10, vcc_lo
	v_cmp_eq_u32_e32 vcc_lo, 0x40f, v18
	v_add_nc_u32_e32 v17, 0xfffffc10, v17
	v_or_b32_e32 v14, 0x1000, v20
	v_med3_i32 v22, v6, 0, 13
	v_and_b32_e32 v23, 7, v10
	v_cvt_f64_f32_e32 v[6:7], v7
	s_wait_alu 0xfffd
	v_cndmask_b32_e32 v18, v21, v2, vcc_lo
	v_add_co_u32 v2, vcc_lo, v0, s4
	v_lshrrev_b32_e32 v24, v22, v14
	v_lshrrev_b32_e32 v21, 16, v3
	s_wait_alu 0xfffd
	v_add_co_ci_u32_e32 v3, vcc_lo, s5, v1, vcc_lo
	v_cmp_lt_i32_e32 vcc_lo, 5, v23
	v_cmp_eq_u32_e64 s0, 3, v23
	v_lshrrev_b32_e32 v10, 2, v10
	v_lshlrev_b32_e32 v22, v22, v24
	v_mul_f64_e32 v[12:13], s[8:9], v[12:13]
	v_and_or_b32 v18, 0x8000, v21, v18
	s_or_b32 vcc_lo, s0, vcc_lo
	v_lshl_or_b32 v21, v17, 12, v20
	s_wait_alu 0xfffe
	v_add_co_ci_u32_e32 v10, vcc_lo, 0, v10, vcc_lo
	v_cmp_ne_u32_e64 s1, v22, v14
	v_cmp_ne_u32_e32 vcc_lo, 0, v8
	v_and_or_b32 v4, 0x1ff, v5, v4
	s_wait_alu 0xf1ff
	s_delay_alu instid0(VALU_DEP_3) | instskip(SKIP_3) | instid1(VALU_DEP_3)
	v_cndmask_b32_e64 v14, 0, 1, s1
	s_wait_alu 0xfffd
	v_cndmask_b32_e64 v8, 0, 1, vcc_lo
	v_cmp_gt_i32_e32 vcc_lo, 31, v15
	v_or_b32_e32 v14, v24, v14
	s_delay_alu instid0(VALU_DEP_3)
	v_lshl_or_b32 v8, v8, 9, 0x7c00
	s_wait_alu 0xfffd
	v_cndmask_b32_e32 v10, 0x7c00, v10, vcc_lo
	v_cmp_gt_i32_e32 vcc_lo, 1, v17
	s_wait_alu 0xfffd
	v_cndmask_b32_e32 v14, v21, v14, vcc_lo
	v_cmp_eq_u32_e32 vcc_lo, 0x40f, v15
	v_lshrrev_b32_e32 v15, 8, v5
	v_mul_f64_e32 v[6:7], s[8:9], v[6:7]
	v_bfe_u32 v21, v5, 20, 11
	v_lshrrev_b32_e32 v5, 16, v5
	s_wait_alu 0xfffd
	v_cndmask_b32_e32 v8, v10, v8, vcc_lo
	v_cmp_ne_u32_e32 vcc_lo, 0, v4
	v_and_b32_e32 v10, 7, v14
	s_delay_alu instid0(VALU_DEP_3)
	v_and_or_b32 v8, 0x8000, v9, v8
	v_and_b32_e32 v9, 0xffff, v18
	s_wait_alu 0xfffd
	v_cndmask_b32_e64 v4, 0, 1, vcc_lo
	v_cmp_lt_i32_e32 vcc_lo, 5, v10
	v_cmp_eq_u32_e64 s0, 3, v10
	v_and_or_b32 v12, 0x1ff, v13, v12
	v_lshl_or_b32 v10, v8, 16, v9
	v_lshrrev_b32_e32 v8, 2, v14
	v_and_or_b32 v4, 0xffe, v15, v4
	v_sub_nc_u32_e32 v15, 0x3f1, v21
	s_or_b32 vcc_lo, s0, vcc_lo
	v_bfe_u32 v22, v13, 20, 11
	s_wait_alu 0xfffe
	v_add_co_ci_u32_e32 v8, vcc_lo, 0, v8, vcc_lo
	v_or_b32_e32 v9, 0x1000, v4
	v_med3_i32 v14, v15, 0, 13
	v_cmp_ne_u32_e32 vcc_lo, 0, v20
	v_lshrrev_b32_e32 v20, 8, v13
	s_delay_alu instid0(VALU_DEP_3) | instskip(SKIP_3) | instid1(VALU_DEP_3)
	v_lshrrev_b32_e32 v18, v14, v9
	s_wait_alu 0xfffd
	v_cndmask_b32_e64 v15, 0, 1, vcc_lo
	v_cmp_gt_i32_e32 vcc_lo, 31, v17
	v_lshlrev_b32_e32 v14, v14, v18
	s_delay_alu instid0(VALU_DEP_3)
	v_lshl_or_b32 v15, v15, 9, 0x7c00
	s_wait_alu 0xfffd
	v_cndmask_b32_e32 v8, 0x7c00, v8, vcc_lo
	v_cmp_ne_u32_e32 vcc_lo, 0, v12
	v_and_or_b32 v6, 0x1ff, v7, v6
	s_wait_alu 0xfffd
	v_cndmask_b32_e64 v12, 0, 1, vcc_lo
	v_cmp_ne_u32_e32 vcc_lo, v14, v9
	v_add_nc_u32_e32 v14, 0xfffffc10, v21
	v_bfe_u32 v21, v7, 20, 11
	s_delay_alu instid0(VALU_DEP_4)
	v_and_or_b32 v12, 0xffe, v20, v12
	s_wait_alu 0xfffd
	v_cndmask_b32_e64 v9, 0, 1, vcc_lo
	v_sub_nc_u32_e32 v20, 0x3f1, v22
	v_cmp_eq_u32_e32 vcc_lo, 0x40f, v17
	v_or_b32_e32 v17, 0x1000, v12
	s_delay_alu instid0(VALU_DEP_4) | instskip(NEXT) | instid1(VALU_DEP_4)
	v_or_b32_e32 v9, v18, v9
	v_med3_i32 v18, v20, 0, 13
	s_wait_alu 0xfffd
	v_cndmask_b32_e32 v8, v8, v15, vcc_lo
	v_lshl_or_b32 v15, v14, 12, v4
	v_cmp_gt_i32_e32 vcc_lo, 1, v14
	v_lshrrev_b32_e32 v20, 8, v7
	v_lshrrev_b32_e32 v7, 16, v7
	v_and_or_b32 v8, 0x8000, v11, v8
	v_sub_nc_u32_e32 v11, 0x3f1, v21
	s_wait_alu 0xfffd
	v_cndmask_b32_e32 v9, v15, v9, vcc_lo
	v_lshrrev_b32_e32 v15, v18, v17
	v_cmp_ne_u32_e32 vcc_lo, 0, v6
	v_and_b32_e32 v8, 0xffff, v8
	v_med3_i32 v11, v11, 0, 13
	v_and_b32_e32 v23, 7, v9
	v_lshlrev_b32_e32 v18, v18, v15
	s_wait_alu 0xfffd
	v_cndmask_b32_e64 v6, 0, 1, vcc_lo
	v_lshrrev_b32_e32 v9, 2, v9
	v_cmp_lt_i32_e32 vcc_lo, 5, v23
	v_cmp_ne_u32_e64 s0, v18, v17
	s_delay_alu instid0(VALU_DEP_4) | instskip(SKIP_2) | instid1(VALU_DEP_3)
	v_and_or_b32 v6, 0xffe, v20, v6
	v_add_nc_u32_e32 v20, 0xfffffc10, v22
	s_wait_alu 0xf1ff
	v_cndmask_b32_e64 v17, 0, 1, s0
	v_cmp_eq_u32_e64 s0, 3, v23
	v_or_b32_e32 v18, 0x1000, v6
	v_lshl_or_b32 v22, v20, 12, v12
	s_delay_alu instid0(VALU_DEP_4) | instskip(NEXT) | instid1(VALU_DEP_4)
	v_or_b32_e32 v15, v15, v17
	s_or_b32 vcc_lo, s0, vcc_lo
	s_delay_alu instid0(VALU_DEP_3) | instskip(SKIP_3) | instid1(VALU_DEP_3)
	v_lshrrev_b32_e32 v17, v11, v18
	s_wait_alu 0xfffe
	v_add_co_ci_u32_e32 v9, vcc_lo, 0, v9, vcc_lo
	v_cmp_gt_i32_e32 vcc_lo, 1, v20
	v_lshlrev_b32_e32 v11, v11, v17
	s_wait_alu 0xfffd
	v_cndmask_b32_e32 v15, v22, v15, vcc_lo
	v_cmp_ne_u32_e32 vcc_lo, 0, v4
	s_wait_alu 0xfffd
	v_cndmask_b32_e64 v4, 0, 1, vcc_lo
	v_cmp_ne_u32_e32 vcc_lo, v11, v18
	v_add_nc_u32_e32 v18, 0xfffffc10, v21
	v_and_b32_e32 v21, 7, v15
	s_delay_alu instid0(VALU_DEP_4)
	v_lshl_or_b32 v4, v4, 9, 0x7c00
	s_wait_alu 0xfffd
	v_cndmask_b32_e64 v11, 0, 1, vcc_lo
	v_cmp_gt_i32_e32 vcc_lo, 31, v14
	v_cmp_gt_i32_e64 s1, 1, v18
	v_cmp_eq_u32_e64 s0, 3, v21
	s_delay_alu instid0(VALU_DEP_4)
	v_or_b32_e32 v11, v17, v11
	v_lshl_or_b32 v17, v18, 12, v6
	s_wait_alu 0xfffd
	v_cndmask_b32_e32 v9, 0x7c00, v9, vcc_lo
	v_cmp_lt_i32_e32 vcc_lo, 5, v21
	s_wait_alu 0xf1ff
	v_cndmask_b32_e64 v11, v17, v11, s1
	v_cmp_eq_u32_e64 s1, 0x40f, v14
	s_or_b32 vcc_lo, s0, vcc_lo
	s_delay_alu instid0(VALU_DEP_2) | instskip(NEXT) | instid1(VALU_DEP_2)
	v_and_b32_e32 v14, 7, v11
	v_cndmask_b32_e64 v4, v9, v4, s1
	v_lshrrev_b32_e32 v9, 2, v15
	v_lshrrev_b32_e32 v11, 2, v11
	v_cmp_gt_i32_e64 s1, 31, v20
	v_cmp_eq_u32_e64 s0, 3, v14
	s_wait_alu 0xfffe
	v_add_co_ci_u32_e32 v9, vcc_lo, 0, v9, vcc_lo
	v_cmp_ne_u32_e32 vcc_lo, 0, v12
	s_wait_alu 0xf1ff
	s_delay_alu instid0(VALU_DEP_2) | instskip(SKIP_3) | instid1(VALU_DEP_2)
	v_cndmask_b32_e64 v9, 0x7c00, v9, s1
	s_wait_alu 0xfffd
	v_cndmask_b32_e64 v12, 0, 1, vcc_lo
	v_cmp_lt_i32_e32 vcc_lo, 5, v14
	v_lshl_or_b32 v12, v12, 9, 0x7c00
	s_or_b32 vcc_lo, s0, vcc_lo
	s_wait_alu 0xfffe
	v_add_co_ci_u32_e32 v11, vcc_lo, 0, v11, vcc_lo
	v_cmp_ne_u32_e32 vcc_lo, 0, v6
	s_wait_alu 0xfffd
	v_cndmask_b32_e64 v6, 0, 1, vcc_lo
	v_cmp_eq_u32_e32 vcc_lo, 0x40f, v20
	s_delay_alu instid0(VALU_DEP_2)
	v_lshl_or_b32 v6, v6, 9, 0x7c00
	s_wait_alu 0xfffd
	v_cndmask_b32_e32 v9, v9, v12, vcc_lo
	v_cmp_gt_i32_e32 vcc_lo, 31, v18
	v_lshrrev_b32_e32 v12, 16, v13
	v_and_or_b32 v13, 0x8000, v5, v4
	s_wait_alu 0xfffd
	v_cndmask_b32_e32 v11, 0x7c00, v11, vcc_lo
	v_cmp_eq_u32_e32 vcc_lo, 0x40f, v18
	v_and_or_b32 v9, 0x8000, v12, v9
	s_wait_alu 0xfffd
	s_delay_alu instid0(VALU_DEP_1)
	v_dual_cndmask_b32 v6, v11, v6 :: v_dual_and_b32 v9, 0xffff, v9
	v_add_co_u32 v4, vcc_lo, v2, s2
	s_wait_alu 0xfffd
	v_add_co_ci_u32_e32 v5, vcc_lo, s3, v3, vcc_lo
	v_lshl_or_b32 v11, v13, 16, v8
	v_and_or_b32 v8, 0x8000, v7, v6
	v_add_co_u32 v6, vcc_lo, v4, s4
	s_wait_alu 0xfffd
	v_add_co_ci_u32_e32 v7, vcc_lo, s5, v5, vcc_lo
	s_delay_alu instid0(VALU_DEP_3) | instskip(NEXT) | instid1(VALU_DEP_3)
	v_lshl_or_b32 v12, v8, 16, v9
	v_add_co_u32 v8, vcc_lo, v6, s2
	s_wait_alu 0xfffd
	s_delay_alu instid0(VALU_DEP_3)
	v_add_co_ci_u32_e32 v9, vcc_lo, s3, v7, vcc_lo
	global_store_b32 v[0:1], v19, off
	global_store_b32 v[2:3], v16, off
	;; [unrolled: 1-line block ×5, first 2 shown]
.LBB0_10:
	s_nop 0
	s_sendmsg sendmsg(MSG_DEALLOC_VGPRS)
	s_endpgm
	.section	.rodata,"a",@progbits
	.p2align	6, 0x0
	.amdhsa_kernel bluestein_single_fwd_len756_dim1_half_op_CI_CI
		.amdhsa_group_segment_fixed_size 3024
		.amdhsa_private_segment_fixed_size 0
		.amdhsa_kernarg_size 104
		.amdhsa_user_sgpr_count 2
		.amdhsa_user_sgpr_dispatch_ptr 0
		.amdhsa_user_sgpr_queue_ptr 0
		.amdhsa_user_sgpr_kernarg_segment_ptr 1
		.amdhsa_user_sgpr_dispatch_id 0
		.amdhsa_user_sgpr_private_segment_size 0
		.amdhsa_wavefront_size32 1
		.amdhsa_uses_dynamic_stack 0
		.amdhsa_enable_private_segment 0
		.amdhsa_system_sgpr_workgroup_id_x 1
		.amdhsa_system_sgpr_workgroup_id_y 0
		.amdhsa_system_sgpr_workgroup_id_z 0
		.amdhsa_system_sgpr_workgroup_info 0
		.amdhsa_system_vgpr_workitem_id 0
		.amdhsa_next_free_vgpr 190
		.amdhsa_next_free_sgpr 20
		.amdhsa_reserve_vcc 1
		.amdhsa_float_round_mode_32 0
		.amdhsa_float_round_mode_16_64 0
		.amdhsa_float_denorm_mode_32 3
		.amdhsa_float_denorm_mode_16_64 3
		.amdhsa_fp16_overflow 0
		.amdhsa_workgroup_processor_mode 1
		.amdhsa_memory_ordered 1
		.amdhsa_forward_progress 0
		.amdhsa_round_robin_scheduling 0
		.amdhsa_exception_fp_ieee_invalid_op 0
		.amdhsa_exception_fp_denorm_src 0
		.amdhsa_exception_fp_ieee_div_zero 0
		.amdhsa_exception_fp_ieee_overflow 0
		.amdhsa_exception_fp_ieee_underflow 0
		.amdhsa_exception_fp_ieee_inexact 0
		.amdhsa_exception_int_div_zero 0
	.end_amdhsa_kernel
	.text
.Lfunc_end0:
	.size	bluestein_single_fwd_len756_dim1_half_op_CI_CI, .Lfunc_end0-bluestein_single_fwd_len756_dim1_half_op_CI_CI
                                        ; -- End function
	.section	.AMDGPU.csdata,"",@progbits
; Kernel info:
; codeLenInByte = 22392
; NumSgprs: 22
; NumVgprs: 190
; ScratchSize: 0
; MemoryBound: 0
; FloatMode: 240
; IeeeMode: 1
; LDSByteSize: 3024 bytes/workgroup (compile time only)
; SGPRBlocks: 2
; VGPRBlocks: 23
; NumSGPRsForWavesPerEU: 22
; NumVGPRsForWavesPerEU: 190
; Occupancy: 8
; WaveLimiterHint : 1
; COMPUTE_PGM_RSRC2:SCRATCH_EN: 0
; COMPUTE_PGM_RSRC2:USER_SGPR: 2
; COMPUTE_PGM_RSRC2:TRAP_HANDLER: 0
; COMPUTE_PGM_RSRC2:TGID_X_EN: 1
; COMPUTE_PGM_RSRC2:TGID_Y_EN: 0
; COMPUTE_PGM_RSRC2:TGID_Z_EN: 0
; COMPUTE_PGM_RSRC2:TIDIG_COMP_CNT: 0
	.text
	.p2alignl 7, 3214868480
	.fill 96, 4, 3214868480
	.type	__hip_cuid_223963fd8118f96f,@object ; @__hip_cuid_223963fd8118f96f
	.section	.bss,"aw",@nobits
	.globl	__hip_cuid_223963fd8118f96f
__hip_cuid_223963fd8118f96f:
	.byte	0                               ; 0x0
	.size	__hip_cuid_223963fd8118f96f, 1

	.ident	"AMD clang version 19.0.0git (https://github.com/RadeonOpenCompute/llvm-project roc-6.4.0 25133 c7fe45cf4b819c5991fe208aaa96edf142730f1d)"
	.section	".note.GNU-stack","",@progbits
	.addrsig
	.addrsig_sym __hip_cuid_223963fd8118f96f
	.amdgpu_metadata
---
amdhsa.kernels:
  - .args:
      - .actual_access:  read_only
        .address_space:  global
        .offset:         0
        .size:           8
        .value_kind:     global_buffer
      - .actual_access:  read_only
        .address_space:  global
        .offset:         8
        .size:           8
        .value_kind:     global_buffer
      - .actual_access:  read_only
        .address_space:  global
        .offset:         16
        .size:           8
        .value_kind:     global_buffer
      - .actual_access:  read_only
        .address_space:  global
        .offset:         24
        .size:           8
        .value_kind:     global_buffer
      - .actual_access:  read_only
        .address_space:  global
        .offset:         32
        .size:           8
        .value_kind:     global_buffer
      - .offset:         40
        .size:           8
        .value_kind:     by_value
      - .address_space:  global
        .offset:         48
        .size:           8
        .value_kind:     global_buffer
      - .address_space:  global
        .offset:         56
        .size:           8
        .value_kind:     global_buffer
      - .address_space:  global
        .offset:         64
        .size:           8
        .value_kind:     global_buffer
      - .address_space:  global
        .offset:         72
        .size:           8
        .value_kind:     global_buffer
      - .offset:         80
        .size:           4
        .value_kind:     by_value
      - .address_space:  global
        .offset:         88
        .size:           8
        .value_kind:     global_buffer
      - .address_space:  global
        .offset:         96
        .size:           8
        .value_kind:     global_buffer
    .group_segment_fixed_size: 3024
    .kernarg_segment_align: 8
    .kernarg_segment_size: 104
    .language:       OpenCL C
    .language_version:
      - 2
      - 0
    .max_flat_workgroup_size: 63
    .name:           bluestein_single_fwd_len756_dim1_half_op_CI_CI
    .private_segment_fixed_size: 0
    .sgpr_count:     22
    .sgpr_spill_count: 0
    .symbol:         bluestein_single_fwd_len756_dim1_half_op_CI_CI.kd
    .uniform_work_group_size: 1
    .uses_dynamic_stack: false
    .vgpr_count:     190
    .vgpr_spill_count: 0
    .wavefront_size: 32
    .workgroup_processor_mode: 1
amdhsa.target:   amdgcn-amd-amdhsa--gfx1201
amdhsa.version:
  - 1
  - 2
...

	.end_amdgpu_metadata
